;; amdgpu-corpus repo=ROCm/rocFFT kind=compiled arch=gfx1030 opt=O3
	.text
	.amdgcn_target "amdgcn-amd-amdhsa--gfx1030"
	.amdhsa_code_object_version 6
	.protected	bluestein_single_back_len1080_dim1_dp_op_CI_CI ; -- Begin function bluestein_single_back_len1080_dim1_dp_op_CI_CI
	.globl	bluestein_single_back_len1080_dim1_dp_op_CI_CI
	.p2align	8
	.type	bluestein_single_back_len1080_dim1_dp_op_CI_CI,@function
bluestein_single_back_len1080_dim1_dp_op_CI_CI: ; @bluestein_single_back_len1080_dim1_dp_op_CI_CI
; %bb.0:
	s_load_dwordx4 s[12:15], s[4:5], 0x28
	v_mul_u32_u24_e32 v1, 0x25f, v0
	v_mov_b32_e32 v185, 0
	s_mov_b32 s0, exec_lo
	v_lshrrev_b32_e32 v26, 16, v1
	v_lshl_add_u32 v184, s6, 1, v26
	s_waitcnt lgkmcnt(0)
	v_cmpx_gt_u64_e64 s[12:13], v[184:185]
	s_cbranch_execz .LBB0_31
; %bb.1:
	s_clause 0x1
	s_load_dwordx4 s[8:11], s[4:5], 0x18
	s_load_dwordx2 s[6:7], s[4:5], 0x0
	v_mul_lo_u16 v1, 0x6c, v26
	v_and_b32_e32 v76, 1, v26
	v_sub_nc_u16 v75, v0, v1
	v_and_b32_e32 v189, 0xffff, v75
	v_lshlrev_b32_e32 v196, 4, v189
	s_waitcnt lgkmcnt(0)
	s_load_dwordx4 s[0:3], s[8:9], 0x0
	v_add_co_u32 v180, s8, s6, v196
	v_add_co_ci_u32_e64 v181, null, s7, 0, s8
	global_load_dwordx4 v[0:3], v196, s[6:7]
	v_add_co_u32 v4, vcc_lo, 0x800, v180
	v_add_co_ci_u32_e32 v5, vcc_lo, 0, v181, vcc_lo
	v_add_co_u32 v185, vcc_lo, 0x1000, v180
	v_add_co_ci_u32_e32 v186, vcc_lo, 0, v181, vcc_lo
	s_waitcnt lgkmcnt(0)
	v_mad_u64_u32 v[8:9], null, s2, v184, 0
	v_mad_u64_u32 v[10:11], null, s0, v189, 0
	s_mul_hi_u32 s6, s0, 0xb4
	s_mul_i32 s2, s0, 0xb4
	v_mov_b32_e32 v6, v9
	v_mov_b32_e32 v7, v11
	v_mad_u64_u32 v[11:12], null, s3, v184, v[6:7]
	v_mad_u64_u32 v[14:15], null, s1, v189, v[7:8]
	v_add_co_u32 v12, vcc_lo, 0x2000, v180
	v_add_co_ci_u32_e32 v13, vcc_lo, 0, v181, vcc_lo
	v_mov_b32_e32 v9, v11
	v_add_co_u32 v187, vcc_lo, 0x2800, v180
	v_mov_b32_e32 v11, v14
	v_add_co_ci_u32_e32 v188, vcc_lo, 0, v181, vcc_lo
	v_lshlrev_b64 v[8:9], 4, v[8:9]
	v_add_co_u32 v182, vcc_lo, 0x3800, v180
	v_add_co_ci_u32_e32 v183, vcc_lo, 0, v181, vcc_lo
	v_lshlrev_b64 v[10:11], 4, v[10:11]
	v_add_co_u32 v8, vcc_lo, s14, v8
	v_add_co_ci_u32_e32 v9, vcc_lo, s15, v9, vcc_lo
	s_mul_i32 s3, s1, 0xb4
	v_add_co_u32 v16, vcc_lo, v8, v10
	s_add_i32 s3, s6, s3
	v_add_co_ci_u32_e32 v17, vcc_lo, v9, v11, vcc_lo
	s_lshl_b64 s[6:7], s[2:3], 4
	s_clause 0x1
	global_load_dwordx4 v[4:7], v[4:5], off offset:832
	global_load_dwordx4 v[12:15], v[12:13], off offset:448
	v_add_co_u32 v18, vcc_lo, v16, s6
	v_add_co_ci_u32_e32 v19, vcc_lo, s7, v17, vcc_lo
	global_load_dwordx4 v[8:11], v[185:186], off offset:1664
	v_add_co_u32 v20, vcc_lo, v18, s6
	v_add_co_ci_u32_e32 v21, vcc_lo, s7, v19, vcc_lo
	s_clause 0x1
	global_load_dwordx4 v[27:30], v[16:17], off
	global_load_dwordx4 v[31:34], v[18:19], off
	v_add_co_u32 v22, vcc_lo, v20, s6
	v_add_co_ci_u32_e32 v23, vcc_lo, s7, v21, vcc_lo
	global_load_dwordx4 v[35:38], v[20:21], off
	v_add_co_u32 v43, vcc_lo, v22, s6
	v_add_co_ci_u32_e32 v44, vcc_lo, s7, v23, vcc_lo
	v_add_co_u32 v24, vcc_lo, v43, s6
	v_add_co_ci_u32_e32 v25, vcc_lo, s7, v44, vcc_lo
	global_load_dwordx4 v[39:42], v[22:23], off
	global_load_dwordx4 v[16:19], v[187:188], off offset:1280
	global_load_dwordx4 v[43:46], v[43:44], off
	global_load_dwordx4 v[20:23], v[182:183], off offset:64
	global_load_dwordx4 v[47:50], v[24:25], off
	v_cmp_eq_u32_e32 vcc_lo, 1, v76
	s_load_dwordx2 s[2:3], s[4:5], 0x38
	s_load_dwordx4 s[8:11], s[10:11], 0x0
	v_cndmask_b32_e64 v199, 0, 0x438, vcc_lo
	v_cmp_gt_u16_e32 vcc_lo, 0x48, v75
	v_lshlrev_b32_e32 v191, 4, v199
	v_add_nc_u32_e32 v190, v191, v196
	s_waitcnt vmcnt(7)
	v_mul_f64 v[51:52], v[29:30], v[2:3]
	v_mul_f64 v[53:54], v[27:28], v[2:3]
	s_waitcnt vmcnt(6)
	v_mul_f64 v[55:56], v[33:34], v[6:7]
	v_mul_f64 v[57:58], v[31:32], v[6:7]
	;; [unrolled: 3-line block ×6, first 2 shown]
	v_fma_f64 v[26:27], v[27:28], v[0:1], v[51:52]
	v_fma_f64 v[28:29], v[29:30], v[0:1], -v[53:54]
	v_fma_f64 v[30:31], v[31:32], v[4:5], v[55:56]
	v_fma_f64 v[32:33], v[33:34], v[4:5], -v[57:58]
	ds_write_b128 v190, v[26:29]
	ds_write_b128 v190, v[30:33] offset:2880
	v_fma_f64 v[34:35], v[35:36], v[8:9], v[59:60]
	v_fma_f64 v[36:37], v[37:38], v[8:9], -v[61:62]
	v_fma_f64 v[38:39], v[39:40], v[12:13], v[63:64]
	v_fma_f64 v[40:41], v[41:42], v[12:13], -v[65:66]
	;; [unrolled: 2-line block ×4, first 2 shown]
	ds_write_b128 v190, v[34:37] offset:5760
	ds_write_b128 v190, v[38:41] offset:8640
	;; [unrolled: 1-line block ×4, first 2 shown]
	s_and_saveexec_b32 s12, vcc_lo
	s_cbranch_execz .LBB0_3
; %bb.2:
	v_mad_u64_u32 v[36:37], null, 0xffffce80, s0, v[24:25]
	s_mulk_i32 s1, 0xce80
	s_clause 0x1
	global_load_dwordx4 v[24:27], v[180:181], off offset:1728
	global_load_dwordx4 v[28:31], v[185:186], off offset:512
	s_sub_i32 s0, s1, s0
	v_add_nc_u32_e32 v37, s0, v37
	v_add_co_u32 v40, s0, v36, s6
	v_add_co_ci_u32_e64 v41, s0, s7, v37, s0
	v_add_co_u32 v44, s0, v40, s6
	v_add_co_ci_u32_e64 v45, s0, s7, v41, s0
	;; [unrolled: 2-line block ×4, first 2 shown]
	global_load_dwordx4 v[32:35], v[32:33], off offset:1344
	global_load_dwordx4 v[36:39], v[36:37], off
	global_load_dwordx4 v[40:43], v[40:41], off
	;; [unrolled: 1-line block ×4, first 2 shown]
	v_add_co_u32 v56, s0, v52, s6
	v_add_co_ci_u32_e64 v57, s0, s7, v53, s0
	v_add_co_u32 v60, s0, 0x3000, v180
	v_add_co_ci_u32_e64 v61, s0, 0, v181, s0
	;; [unrolled: 2-line block ×3, first 2 shown]
	global_load_dwordx4 v[52:55], v[187:188], off offset:128
	global_load_dwordx4 v[56:59], v[56:57], off
	s_clause 0x1
	global_load_dwordx4 v[60:63], v[60:61], off offset:960
	global_load_dwordx4 v[64:67], v[182:183], off offset:1792
	global_load_dwordx4 v[68:71], v[68:69], off
	s_waitcnt vmcnt(8)
	v_mul_f64 v[72:73], v[38:39], v[26:27]
	v_mul_f64 v[26:27], v[36:37], v[26:27]
	s_waitcnt vmcnt(7)
	v_mul_f64 v[74:75], v[42:43], v[30:31]
	v_mul_f64 v[30:31], v[40:41], v[30:31]
	;; [unrolled: 3-line block ×6, first 2 shown]
	v_fma_f64 v[34:35], v[36:37], v[24:25], v[72:73]
	v_fma_f64 v[36:37], v[38:39], v[24:25], -v[26:27]
	v_fma_f64 v[24:25], v[40:41], v[28:29], v[74:75]
	v_fma_f64 v[26:27], v[42:43], v[28:29], -v[30:31]
	;; [unrolled: 2-line block ×6, first 2 shown]
	ds_write_b128 v190, v[34:37] offset:1728
	ds_write_b128 v190, v[24:27] offset:4608
	;; [unrolled: 1-line block ×6, first 2 shown]
.LBB0_3:
	s_or_b32 exec_lo, exec_lo, s12
	s_waitcnt lgkmcnt(0)
	s_barrier
	buffer_gl0_inv
	ds_read_b128 v[56:59], v190
	ds_read_b128 v[64:67], v190 offset:2880
	ds_read_b128 v[60:63], v190 offset:5760
	;; [unrolled: 1-line block ×5, first 2 shown]
                                        ; implicit-def: $vgpr24_vgpr25
                                        ; implicit-def: $vgpr28_vgpr29
                                        ; implicit-def: $vgpr32_vgpr33
                                        ; implicit-def: $vgpr36_vgpr37
                                        ; implicit-def: $vgpr40_vgpr41
                                        ; implicit-def: $vgpr44_vgpr45
	s_and_saveexec_b32 s0, vcc_lo
	s_cbranch_execz .LBB0_5
; %bb.4:
	ds_read_b128 v[24:27], v190 offset:1728
	ds_read_b128 v[28:31], v190 offset:4608
	;; [unrolled: 1-line block ×6, first 2 shown]
.LBB0_5:
	s_or_b32 exec_lo, exec_lo, s0
	s_waitcnt lgkmcnt(0)
	v_add_f64 v[72:73], v[70:71], v[50:51]
	v_add_f64 v[74:75], v[68:69], v[48:49]
	;; [unrolled: 1-line block ×4, first 2 shown]
	v_add_f64 v[80:81], v[70:71], -v[50:51]
	v_add_f64 v[82:83], v[68:69], -v[48:49]
	;; [unrolled: 1-line block ×4, first 2 shown]
	s_mov_b32 s0, 0xe8584caa
	s_mov_b32 s1, 0x3febb67a
	;; [unrolled: 1-line block ×4, first 2 shown]
	v_add_f64 v[88:89], v[60:61], v[52:53]
	v_add_f64 v[90:91], v[62:63], v[54:55]
	v_add_f64 v[102:103], v[32:33], -v[40:41]
	s_load_dwordx2 s[4:5], s[4:5], 0x8
	v_add_co_u32 v200, null, 0x6c, v189
	s_waitcnt lgkmcnt(0)
	s_barrier
	buffer_gl0_inv
	v_mul_u32_u24_e32 v194, 6, v200
	v_fma_f64 v[72:73], v[72:73], -0.5, v[66:67]
	v_fma_f64 v[74:75], v[74:75], -0.5, v[64:65]
	;; [unrolled: 1-line block ×4, first 2 shown]
	v_add_f64 v[64:65], v[64:65], v[68:69]
	v_add_f64 v[66:67], v[66:67], v[70:71]
	v_add_f64 v[68:69], v[34:35], -v[42:43]
	v_fma_f64 v[92:93], v[82:83], s[6:7], v[72:73]
	v_fma_f64 v[94:95], v[80:81], s[6:7], v[74:75]
	v_fma_f64 v[74:75], v[80:81], s[0:1], v[74:75]
	v_fma_f64 v[72:73], v[82:83], s[0:1], v[72:73]
	v_add_f64 v[80:81], v[32:33], v[40:41]
	v_add_f64 v[82:83], v[34:35], v[42:43]
	v_fma_f64 v[96:97], v[86:87], s[6:7], v[76:77]
	v_fma_f64 v[98:99], v[84:85], s[6:7], v[78:79]
	;; [unrolled: 1-line block ×4, first 2 shown]
	v_add_f64 v[84:85], v[56:57], v[60:61]
	v_add_f64 v[86:87], v[62:63], -v[54:55]
	v_add_f64 v[62:63], v[58:59], v[62:63]
	v_fma_f64 v[56:57], v[88:89], -0.5, v[56:57]
	v_add_f64 v[60:61], v[60:61], -v[52:53]
	v_fma_f64 v[58:59], v[90:91], -0.5, v[58:59]
	v_add_f64 v[114:115], v[64:65], v[48:49]
	v_add_f64 v[116:117], v[66:67], v[50:51]
	v_mul_f64 v[70:71], v[92:93], s[0:1]
	v_mul_f64 v[88:89], v[94:95], -0.5
	v_mul_f64 v[90:91], v[74:75], s[6:7]
	v_mul_f64 v[100:101], v[72:73], -0.5
	v_fma_f64 v[80:81], v[80:81], -0.5, v[24:25]
	v_fma_f64 v[82:83], v[82:83], -0.5, v[26:27]
	v_mul_f64 v[104:105], v[96:97], s[0:1]
	v_mul_f64 v[106:107], v[98:99], -0.5
	v_mul_f64 v[108:109], v[78:79], s[6:7]
	v_mul_f64 v[110:111], v[76:77], -0.5
	v_add_f64 v[84:85], v[84:85], v[52:53]
	v_add_f64 v[112:113], v[62:63], v[54:55]
	v_fma_f64 v[118:119], v[86:87], s[0:1], v[56:57]
	v_fma_f64 v[86:87], v[86:87], s[6:7], v[56:57]
	v_fma_f64 v[120:121], v[60:61], s[6:7], v[58:59]
	v_fma_f64 v[122:123], v[60:61], s[0:1], v[58:59]
	v_fma_f64 v[124:125], v[74:75], 0.5, v[70:71]
	v_fma_f64 v[88:89], v[72:73], s[0:1], v[88:89]
	v_fma_f64 v[90:91], v[92:93], 0.5, v[90:91]
	v_fma_f64 v[92:93], v[94:95], s[6:7], v[100:101]
	v_fma_f64 v[48:49], v[68:69], s[0:1], v[80:81]
	;; [unrolled: 1-line block ×5, first 2 shown]
	v_fma_f64 v[52:53], v[78:79], 0.5, v[104:105]
	v_fma_f64 v[54:55], v[76:77], s[0:1], v[106:107]
	v_fma_f64 v[60:61], v[96:97], 0.5, v[108:109]
	v_fma_f64 v[62:63], v[98:99], s[6:7], v[110:111]
	v_add_f64 v[64:65], v[84:85], v[114:115]
	v_add_f64 v[66:67], v[112:113], v[116:117]
	v_add_f64 v[68:69], v[84:85], -v[114:115]
	v_add_f64 v[70:71], v[112:113], -v[116:117]
	v_add_f64 v[72:73], v[118:119], v[124:125]
	v_add_f64 v[76:77], v[86:87], v[88:89]
	v_add_f64 v[74:75], v[120:121], v[90:91]
	v_add_f64 v[78:79], v[122:123], v[92:93]
	v_add_f64 v[80:81], v[118:119], -v[124:125]
	v_add_f64 v[82:83], v[120:121], -v[90:91]
	;; [unrolled: 1-line block ×8, first 2 shown]
	v_mul_lo_u16 v88, v189, 6
	v_and_b32_e32 v88, 0xffff, v88
	v_lshl_add_u32 v195, v88, 4, v191
	ds_write_b128 v195, v[64:67]
	ds_write_b128 v195, v[68:71] offset:48
	ds_write_b128 v195, v[72:75] offset:16
	ds_write_b128 v195, v[76:79] offset:32
	ds_write_b128 v195, v[80:83] offset:64
	ds_write_b128 v195, v[84:87] offset:80
	s_and_saveexec_b32 s0, vcc_lo
	s_cbranch_execz .LBB0_7
; %bb.6:
	v_add_f64 v[26:27], v[26:27], v[34:35]
	v_add_f64 v[30:31], v[30:31], v[38:39]
	;; [unrolled: 1-line block ×12, first 2 shown]
	v_add_f64 v[34:35], v[32:33], -v[36:37]
	v_add_f64 v[38:39], v[32:33], v[36:37]
	v_add_f64 v[36:37], v[40:41], v[42:43]
	v_add_f64 v[32:33], v[40:41], -v[42:43]
	v_lshl_add_u32 v40, v194, 4, v191
	ds_write_b128 v40, v[100:103] offset:64
	ds_write_b128 v40, v[28:31] offset:16
	;; [unrolled: 1-line block ×3, first 2 shown]
	ds_write_b128 v40, v[36:39]
	ds_write_b128 v40, v[32:35] offset:48
	ds_write_b128 v40, v[104:107] offset:80
.LBB0_7:
	s_or_b32 exec_lo, exec_lo, s0
	v_and_b32_e32 v24, 0xff, v189
	s_waitcnt lgkmcnt(0)
	s_barrier
	buffer_gl0_inv
	s_mov_b32 s0, 0x134454ff
	v_mul_lo_u16 v24, 0xab, v24
	s_mov_b32 s1, 0x3fee6f0e
	s_mov_b32 s15, 0xbfee6f0e
	;; [unrolled: 1-line block ×4, first 2 shown]
	v_lshrrev_b16 v61, 10, v24
	s_mov_b32 s7, 0x3fe2cf23
	s_mov_b32 s17, 0xbfe2cf23
	;; [unrolled: 1-line block ×4, first 2 shown]
	v_mul_lo_u16 v24, v61, 6
	s_mov_b32 s13, 0x3fd3c6ef
	s_mov_b32 s18, 0x9b97f4a8
	;; [unrolled: 1-line block ×3, first 2 shown]
	v_sub_nc_u16 v24, v189, v24
	v_and_b32_e32 v60, 0xff, v24
	v_mad_u64_u32 v[44:45], null, 0x90, v60, s[4:5]
	s_clause 0x8
	global_load_dwordx4 v[28:31], v[44:45], off offset:32
	global_load_dwordx4 v[36:39], v[44:45], off offset:64
	;; [unrolled: 1-line block ×4, first 2 shown]
	global_load_dwordx4 v[24:27], v[44:45], off
	global_load_dwordx4 v[56:59], v[44:45], off offset:16
	global_load_dwordx4 v[52:55], v[44:45], off offset:48
	;; [unrolled: 1-line block ×4, first 2 shown]
	ds_read_b128 v[62:65], v190 offset:5184
	ds_read_b128 v[66:69], v190 offset:8640
	;; [unrolled: 1-line block ×9, first 2 shown]
	s_waitcnt vmcnt(8) lgkmcnt(8)
	v_mul_f64 v[108:109], v[62:63], v[30:31]
	s_waitcnt vmcnt(7) lgkmcnt(7)
	v_mul_f64 v[110:111], v[68:69], v[38:39]
	v_mul_f64 v[112:113], v[66:67], v[38:39]
	s_waitcnt vmcnt(6) lgkmcnt(6)
	v_mul_f64 v[114:115], v[72:73], v[34:35]
	;; [unrolled: 3-line block ×3, first 2 shown]
	v_mul_f64 v[98:99], v[64:65], v[30:31]
	v_mul_f64 v[120:121], v[76:77], v[42:43]
	s_waitcnt vmcnt(4) lgkmcnt(4)
	v_mul_f64 v[122:123], v[80:81], v[26:27]
	v_mul_f64 v[124:125], v[78:79], v[26:27]
	s_waitcnt vmcnt(3) lgkmcnt(3)
	;; [unrolled: 3-line block ×5, first 2 shown]
	v_mul_f64 v[138:139], v[94:95], v[46:47]
	v_fma_f64 v[108:109], v[64:65], v[28:29], v[108:109]
	v_fma_f64 v[66:67], v[66:67], v[36:37], -v[110:111]
	v_fma_f64 v[68:69], v[68:69], v[36:37], v[112:113]
	v_fma_f64 v[70:71], v[70:71], v[32:33], -v[114:115]
	v_fma_f64 v[72:73], v[72:73], v[32:33], v[116:117]
	v_fma_f64 v[76:77], v[76:77], v[40:41], v[118:119]
	v_fma_f64 v[98:99], v[62:63], v[28:29], -v[98:99]
	v_fma_f64 v[74:75], v[74:75], v[40:41], -v[120:121]
	v_mul_f64 v[110:111], v[96:97], v[46:47]
	v_fma_f64 v[78:79], v[78:79], v[24:25], -v[122:123]
	v_fma_f64 v[80:81], v[80:81], v[24:25], v[124:125]
	v_fma_f64 v[82:83], v[82:83], v[56:57], -v[126:127]
	v_fma_f64 v[84:85], v[84:85], v[56:57], v[128:129]
	;; [unrolled: 2-line block ×4, first 2 shown]
	v_fma_f64 v[96:97], v[96:97], v[44:45], v[138:139]
	ds_read_b128 v[62:65], v190
	s_waitcnt lgkmcnt(0)
	s_barrier
	buffer_gl0_inv
	v_add_f64 v[160:161], v[108:109], -v[68:69]
	v_add_f64 v[112:113], v[66:67], v[70:71]
	v_add_f64 v[114:115], v[68:69], v[72:73]
	;; [unrolled: 1-line block ×3, first 2 shown]
	v_add_f64 v[126:127], v[108:109], -v[76:77]
	v_add_f64 v[118:119], v[98:99], v[74:75]
	v_fma_f64 v[94:95], v[94:95], v[44:45], -v[110:111]
	v_add_f64 v[130:131], v[98:99], -v[74:75]
	v_add_f64 v[132:133], v[66:67], -v[70:71]
	;; [unrolled: 1-line block ×6, first 2 shown]
	v_add_f64 v[120:121], v[86:87], v[90:91]
	v_add_f64 v[146:147], v[88:89], v[92:93]
	;; [unrolled: 1-line block ×3, first 2 shown]
	v_add_f64 v[164:165], v[68:69], -v[108:109]
	v_add_f64 v[166:167], v[72:73], -v[76:77]
	;; [unrolled: 1-line block ×4, first 2 shown]
	v_add_f64 v[110:111], v[62:63], v[82:83]
	v_add_f64 v[144:145], v[64:65], v[84:85]
	v_add_f64 v[122:123], v[84:85], -v[96:97]
	v_fma_f64 v[112:113], v[112:113], -0.5, v[78:79]
	v_fma_f64 v[114:115], v[114:115], -0.5, v[80:81]
	v_fma_f64 v[116:117], v[116:117], -0.5, v[80:81]
	v_add_f64 v[80:81], v[80:81], v[108:109]
	v_fma_f64 v[118:119], v[118:119], -0.5, v[78:79]
	v_add_f64 v[138:139], v[82:83], v[94:95]
	v_add_f64 v[78:79], v[78:79], v[98:99]
	v_add_f64 v[124:125], v[88:89], -v[92:93]
	v_add_f64 v[134:135], v[82:83], -v[86:87]
	;; [unrolled: 1-line block ×6, first 2 shown]
	v_fma_f64 v[98:99], v[120:121], -0.5, v[62:63]
	v_fma_f64 v[108:109], v[146:147], -0.5, v[64:65]
	;; [unrolled: 1-line block ×3, first 2 shown]
	v_add_f64 v[120:121], v[152:153], v[154:155]
	v_add_f64 v[146:147], v[160:161], v[162:163]
	;; [unrolled: 1-line block ×3, first 2 shown]
	v_add_f64 v[142:143], v[90:91], -v[94:95]
	v_add_f64 v[176:177], v[84:85], -v[88:89]
	;; [unrolled: 1-line block ×3, first 2 shown]
	v_fma_f64 v[174:175], v[126:127], s[14:15], v[112:113]
	v_fma_f64 v[168:169], v[130:131], s[14:15], v[114:115]
	;; [unrolled: 1-line block ×8, first 2 shown]
	v_fma_f64 v[62:63], v[138:139], -0.5, v[62:63]
	v_add_f64 v[138:139], v[156:157], v[158:159]
	v_add_f64 v[86:87], v[110:111], v[86:87]
	v_add_f64 v[88:89], v[144:145], v[88:89]
	v_add_f64 v[66:67], v[78:79], v[66:67]
	v_add_f64 v[68:69], v[80:81], v[68:69]
	v_add_f64 v[178:179], v[96:97], -v[92:93]
	v_add_f64 v[110:111], v[134:135], v[136:137]
	v_fma_f64 v[78:79], v[122:123], s[0:1], v[98:99]
	v_fma_f64 v[80:81], v[122:123], s[14:15], v[98:99]
	v_add_f64 v[192:193], v[92:93], -v[96:97]
	v_fma_f64 v[158:159], v[128:129], s[16:17], v[174:175]
	v_fma_f64 v[152:153], v[132:133], s[16:17], v[168:169]
	v_fma_f64 v[154:155], v[130:131], s[16:17], v[170:171]
	v_fma_f64 v[112:113], v[128:129], s[6:7], v[112:113]
	v_fma_f64 v[156:157], v[126:127], s[16:17], v[172:173]
	v_fma_f64 v[118:119], v[126:127], s[6:7], v[118:119]
	v_fma_f64 v[116:117], v[130:131], s[6:7], v[116:117]
	v_fma_f64 v[114:115], v[132:133], s[6:7], v[114:115]
	v_fma_f64 v[98:99], v[124:125], s[14:15], v[62:63]
	v_fma_f64 v[128:129], v[82:83], s[14:15], v[108:109]
	v_fma_f64 v[130:131], v[148:149], s[0:1], v[64:65]
	v_fma_f64 v[64:65], v[148:149], s[14:15], v[64:65]
	v_add_f64 v[126:127], v[140:141], v[142:143]
	v_fma_f64 v[62:63], v[124:125], s[0:1], v[62:63]
	v_fma_f64 v[108:109], v[82:83], s[0:1], v[108:109]
	v_add_f64 v[86:87], v[86:87], v[90:91]
	v_add_f64 v[88:89], v[88:89], v[92:93]
	;; [unrolled: 1-line block ×4, first 2 shown]
	v_fma_f64 v[70:71], v[124:125], s[6:7], v[78:79]
	v_fma_f64 v[72:73], v[124:125], s[16:17], v[80:81]
	v_add_f64 v[84:85], v[84:85], v[192:193]
	v_fma_f64 v[140:141], v[120:121], s[12:13], v[158:159]
	v_fma_f64 v[132:133], v[146:147], s[12:13], v[152:153]
	;; [unrolled: 1-line block ×8, first 2 shown]
	v_add_f64 v[120:121], v[176:177], v[178:179]
	v_fma_f64 v[78:79], v[122:123], s[6:7], v[98:99]
	v_fma_f64 v[80:81], v[148:149], s[16:17], v[128:129]
	;; [unrolled: 1-line block ×6, first 2 shown]
	v_add_f64 v[86:87], v[86:87], v[94:95]
	v_add_f64 v[88:89], v[88:89], v[96:97]
	;; [unrolled: 1-line block ×4, first 2 shown]
	v_fma_f64 v[94:95], v[110:111], s[12:13], v[70:71]
	v_fma_f64 v[96:97], v[110:111], s[12:13], v[72:73]
	v_mul_f64 v[122:123], v[140:141], s[18:19]
	v_mul_f64 v[82:83], v[132:133], s[6:7]
	;; [unrolled: 1-line block ×8, first 2 shown]
	v_fma_f64 v[110:111], v[126:127], s[12:13], v[78:79]
	v_fma_f64 v[142:143], v[120:121], s[12:13], v[80:81]
	;; [unrolled: 1-line block ×6, first 2 shown]
	v_mov_b32_e32 v62, 60
	v_add_f64 v[63:64], v[88:89], v[68:69]
	v_mul_u32_u24_sdwa v85, v61, v62 dst_sel:DWORD dst_unused:UNUSED_PAD src0_sel:WORD_0 src1_sel:DWORD
	v_fma_f64 v[114:115], v[114:115], s[6:7], -v[122:123]
	v_fma_f64 v[112:113], v[112:113], s[18:19], v[82:83]
	v_fma_f64 v[98:99], v[118:119], s[12:13], v[98:99]
	;; [unrolled: 1-line block ×3, first 2 shown]
	v_fma_f64 v[116:117], v[116:117], s[0:1], -v[108:109]
	v_fma_f64 v[122:123], v[134:135], s[12:13], v[128:129]
	v_fma_f64 v[124:125], v[136:137], s[14:15], -v[130:131]
	v_fma_f64 v[134:135], v[140:141], s[16:17], -v[138:139]
	v_add_f64 v[61:62], v[86:87], v[66:67]
	v_add_f64 v[65:66], v[86:87], -v[66:67]
	v_add_f64 v[67:68], v[88:89], -v[68:69]
	v_add_nc_u32_e32 v60, v85, v60
	v_lshl_add_u32 v197, v60, 4, v191
	v_add_f64 v[81:82], v[96:97], v[114:115]
	v_add_f64 v[69:70], v[94:95], v[112:113]
	;; [unrolled: 1-line block ×8, first 2 shown]
	v_add_f64 v[108:109], v[94:95], -v[112:113]
	v_add_f64 v[128:129], v[110:111], -v[98:99]
	v_add_f64 v[110:111], v[142:143], -v[118:119]
	v_add_f64 v[130:131], v[92:93], -v[122:123]
	v_add_f64 v[112:113], v[126:127], -v[116:117]
	v_add_f64 v[132:133], v[96:97], -v[114:115]
	v_add_f64 v[114:115], v[120:121], -v[124:125]
	v_add_f64 v[134:135], v[90:91], -v[134:135]
	ds_write_b128 v197, v[61:64]
	ds_write_b128 v197, v[65:68] offset:480
	ds_write_b128 v197, v[69:72] offset:96
	;; [unrolled: 1-line block ×9, first 2 shown]
	s_waitcnt lgkmcnt(0)
	s_barrier
	buffer_gl0_inv
	ds_read_b128 v[116:119], v190
	ds_read_b128 v[136:139], v190 offset:2880
	ds_read_b128 v[120:123], v190 offset:5760
	;; [unrolled: 1-line block ×5, first 2 shown]
	s_and_saveexec_b32 s0, vcc_lo
	s_cbranch_execz .LBB0_9
; %bb.8:
	ds_read_b128 v[108:111], v190 offset:1728
	ds_read_b128 v[128:131], v190 offset:4608
	;; [unrolled: 1-line block ×6, first 2 shown]
.LBB0_9:
	s_or_b32 exec_lo, exec_lo, s0
	v_and_b32_e32 v60, 0xff, v200
	v_subrev_nc_u32_e32 v61, 60, v189
	v_cmp_gt_u16_e64 s0, 60, v189
	s_mov_b32 s7, 0xbfebb67a
	v_mul_lo_u16 v60, 0x89, v60
	v_cndmask_b32_e64 v198, v61, v189, s0
	v_lshrrev_b16 v192, 13, v60
	v_mul_i32_i24_e32 v61, 0x50, v198
	v_mul_hi_i32_i24_e32 v62, 0x50, v198
	v_mul_lo_u16 v60, v192, 60
	v_add_co_u32 v64, s0, s4, v61
	v_add_co_ci_u32_e64 v65, s0, s5, v62, s0
	v_sub_nc_u16 v60, v200, v60
	s_mov_b32 s0, 0xe8584caa
	s_mov_b32 s1, 0x3febb67a
	global_load_dwordx4 v[88:91], v[64:65], off offset:896
	s_mov_b32 s6, s0
	v_and_b32_e32 v193, 0xff, v60
	v_mad_u64_u32 v[66:67], null, 0x50, v193, s[4:5]
	s_clause 0x8
	global_load_dwordx4 v[92:95], v[64:65], off offset:928
	global_load_dwordx4 v[84:87], v[66:67], off offset:896
	;; [unrolled: 1-line block ×9, first 2 shown]
	s_waitcnt vmcnt(0) lgkmcnt(0)
	s_barrier
	buffer_gl0_inv
	v_mul_f64 v[148:149], v[142:143], v[90:91]
	v_mul_f64 v[150:151], v[140:141], v[90:91]
	v_mul_f64 v[152:153], v[144:145], v[94:95]
	v_mul_f64 v[154:155], v[146:147], v[94:95]
	v_mul_f64 v[156:157], v[134:135], v[86:87]
	v_mul_f64 v[158:159], v[132:133], v[86:87]
	v_mul_f64 v[160:161], v[104:105], v[98:99]
	v_mul_f64 v[162:163], v[106:107], v[98:99]
	v_mul_f64 v[164:165], v[138:139], v[74:75]
	v_mul_f64 v[166:167], v[136:137], v[74:75]
	v_mul_f64 v[168:169], v[102:103], v[66:67]
	v_mul_f64 v[170:171], v[100:101], v[66:67]
	v_fma_f64 v[140:141], v[140:141], v[88:89], -v[148:149]
	v_fma_f64 v[142:143], v[142:143], v[88:89], v[150:151]
	v_mul_f64 v[148:149], v[130:131], v[62:63]
	v_mul_f64 v[150:151], v[128:129], v[62:63]
	v_fma_f64 v[146:147], v[146:147], v[92:93], v[152:153]
	v_fma_f64 v[144:145], v[144:145], v[92:93], -v[154:155]
	v_fma_f64 v[132:133], v[132:133], v[84:85], -v[156:157]
	v_fma_f64 v[134:135], v[134:135], v[84:85], v[158:159]
	v_fma_f64 v[106:107], v[106:107], v[96:97], v[160:161]
	v_fma_f64 v[104:105], v[104:105], v[96:97], -v[162:163]
	v_mul_f64 v[152:153], v[122:123], v[82:83]
	v_mul_f64 v[154:155], v[120:121], v[82:83]
	;; [unrolled: 1-line block ×4, first 2 shown]
	v_fma_f64 v[136:137], v[136:137], v[72:73], -v[164:165]
	v_fma_f64 v[138:139], v[138:139], v[72:73], v[166:167]
	v_mul_f64 v[164:165], v[114:115], v[70:71]
	v_mul_f64 v[166:167], v[112:113], v[70:71]
	v_fma_f64 v[100:101], v[100:101], v[64:65], -v[168:169]
	v_fma_f64 v[102:103], v[102:103], v[64:65], v[170:171]
	v_fma_f64 v[128:129], v[128:129], v[60:61], -v[148:149]
	v_fma_f64 v[130:131], v[130:131], v[60:61], v[150:151]
	v_add_f64 v[160:161], v[142:143], v[146:147]
	v_add_f64 v[162:163], v[140:141], v[144:145]
	;; [unrolled: 1-line block ×4, first 2 shown]
	v_fma_f64 v[120:121], v[120:121], v[80:81], -v[152:153]
	v_fma_f64 v[122:123], v[122:123], v[80:81], v[154:155]
	v_fma_f64 v[124:125], v[124:125], v[76:77], -v[156:157]
	v_fma_f64 v[126:127], v[126:127], v[76:77], v[158:159]
	v_add_f64 v[152:153], v[142:143], -v[146:147]
	v_add_f64 v[154:155], v[140:141], -v[144:145]
	v_fma_f64 v[112:113], v[112:113], v[68:69], -v[164:165]
	v_fma_f64 v[114:115], v[114:115], v[68:69], v[166:167]
	v_fma_f64 v[156:157], v[160:161], -0.5, v[138:139]
	v_fma_f64 v[158:159], v[162:163], -0.5, v[136:137]
	v_add_f64 v[160:161], v[134:135], -v[106:107]
	v_add_f64 v[162:163], v[132:133], -v[104:105]
	v_fma_f64 v[148:149], v[148:149], -0.5, v[130:131]
	v_fma_f64 v[150:151], v[150:151], -0.5, v[128:129]
	v_add_f64 v[166:167], v[116:117], v[120:121]
	v_add_f64 v[136:137], v[136:137], v[140:141]
	;; [unrolled: 1-line block ×4, first 2 shown]
	v_add_f64 v[170:171], v[122:123], -v[126:127]
	v_add_f64 v[122:123], v[118:119], v[122:123]
	v_add_f64 v[120:121], v[120:121], -v[124:125]
	v_add_f64 v[138:139], v[138:139], v[142:143]
	v_add_f64 v[140:141], v[108:109], v[112:113]
	;; [unrolled: 1-line block ×5, first 2 shown]
	v_fma_f64 v[172:173], v[154:155], s[6:7], v[156:157]
	v_fma_f64 v[174:175], v[152:153], s[6:7], v[158:159]
	;; [unrolled: 1-line block ×4, first 2 shown]
	v_add_f64 v[156:157], v[112:113], v[100:101]
	v_add_f64 v[158:159], v[114:115], v[102:103]
	v_fma_f64 v[176:177], v[162:163], s[6:7], v[148:149]
	v_fma_f64 v[178:179], v[160:161], s[6:7], v[150:151]
	;; [unrolled: 1-line block ×4, first 2 shown]
	v_fma_f64 v[116:117], v[164:165], -0.5, v[116:117]
	v_add_f64 v[114:115], v[114:115], -v[102:103]
	v_fma_f64 v[118:119], v[168:169], -0.5, v[118:119]
	v_add_f64 v[112:113], v[112:113], -v[100:101]
	v_add_f64 v[164:165], v[166:167], v[124:125]
	v_add_f64 v[136:137], v[136:137], v[144:145]
	;; [unrolled: 1-line block ×4, first 2 shown]
	v_mul_f64 v[132:133], v[172:173], s[0:1]
	v_mul_f64 v[134:135], v[174:175], -0.5
	v_mul_f64 v[160:161], v[152:153], s[6:7]
	v_mul_f64 v[162:163], v[154:155], -0.5
	v_fma_f64 v[156:157], v[156:157], -0.5, v[108:109]
	v_fma_f64 v[124:125], v[158:159], -0.5, v[110:111]
	v_add_f64 v[158:159], v[122:123], v[126:127]
	v_mul_f64 v[122:123], v[176:177], s[0:1]
	v_mul_f64 v[126:127], v[178:179], -0.5
	v_mul_f64 v[166:167], v[150:151], s[6:7]
	v_mul_f64 v[168:169], v[148:149], -0.5
	v_add_f64 v[108:109], v[142:143], v[102:103]
	v_add_f64 v[102:103], v[128:129], v[104:105]
	;; [unrolled: 1-line block ×3, first 2 shown]
	v_fma_f64 v[144:145], v[170:171], s[0:1], v[116:117]
	v_fma_f64 v[146:147], v[170:171], s[6:7], v[116:117]
	;; [unrolled: 1-line block ×4, first 2 shown]
	v_add_f64 v[128:129], v[164:165], -v[136:137]
	v_fma_f64 v[152:153], v[152:153], 0.5, v[132:133]
	v_fma_f64 v[154:155], v[154:155], s[0:1], v[134:135]
	v_fma_f64 v[160:161], v[172:173], 0.5, v[160:161]
	v_fma_f64 v[162:163], v[174:175], s[6:7], v[162:163]
	v_fma_f64 v[104:105], v[114:115], s[0:1], v[156:157]
	;; [unrolled: 1-line block ×5, first 2 shown]
	v_fma_f64 v[112:113], v[150:151], 0.5, v[122:123]
	v_fma_f64 v[114:115], v[148:149], s[0:1], v[126:127]
	v_fma_f64 v[120:121], v[176:177], 0.5, v[166:167]
	v_fma_f64 v[122:123], v[178:179], s[6:7], v[168:169]
	v_add_f64 v[124:125], v[164:165], v[136:137]
	v_add_f64 v[126:127], v[158:159], v[138:139]
	v_add_f64 v[132:133], v[100:101], -v[102:103]
	v_add_f64 v[134:135], v[108:109], -v[110:111]
	v_add_f64 v[130:131], v[158:159], -v[138:139]
	v_cmp_lt_u16_e64 s0, 59, v189
	v_add_f64 v[136:137], v[144:145], v[152:153]
	v_add_f64 v[140:141], v[146:147], v[154:155]
	v_add_f64 v[144:145], v[144:145], -v[152:153]
	v_add_f64 v[156:157], v[146:147], -v[154:155]
	v_add_f64 v[138:139], v[170:171], v[160:161]
	v_add_f64 v[142:143], v[201:202], v[162:163]
	v_add_f64 v[146:147], v[170:171], -v[160:161]
	v_add_f64 v[158:159], v[201:202], -v[162:163]
	;; [unrolled: 1-line block ×6, first 2 shown]
	v_cndmask_b32_e64 v160, 0, 0x168, s0
	v_add_nc_u32_e32 v160, v198, v160
	v_lshl_add_u32 v198, v160, 4, v191
	ds_write_b128 v198, v[124:127]
	ds_write_b128 v198, v[136:139] offset:960
	ds_write_b128 v198, v[140:143] offset:1920
	;; [unrolled: 1-line block ×5, first 2 shown]
	s_and_saveexec_b32 s0, vcc_lo
	s_cbranch_execz .LBB0_11
; %bb.10:
	v_add_f64 v[110:111], v[108:109], v[110:111]
	v_add_f64 v[108:109], v[100:101], v[102:103]
	v_mov_b32_e32 v100, 0x168
	v_add_f64 v[118:119], v[118:119], v[122:123]
	v_add_f64 v[122:123], v[116:117], v[120:121]
	;; [unrolled: 1-line block ×4, first 2 shown]
	v_mul_u32_u24_sdwa v100, v192, v100 dst_sel:DWORD dst_unused:UNUSED_PAD src0_sel:WORD_0 src1_sel:DWORD
	v_add_nc_u32_e32 v100, v100, v193
	v_lshl_add_u32 v100, v100, 4, v191
	ds_write_b128 v100, v[132:135] offset:2880
	ds_write_b128 v100, v[148:151] offset:3840
	ds_write_b128 v100, v[108:111]
	ds_write_b128 v100, v[120:123] offset:960
	ds_write_b128 v100, v[116:119] offset:1920
	;; [unrolled: 1-line block ×3, first 2 shown]
.LBB0_11:
	s_or_b32 exec_lo, exec_lo, s0
	s_waitcnt lgkmcnt(0)
	s_barrier
	buffer_gl0_inv
	ds_read_b128 v[140:143], v190
	ds_read_b128 v[136:139], v190 offset:1728
	ds_read_b128 v[168:171], v190 offset:11520
	;; [unrolled: 1-line block ×8, first 2 shown]
	v_cmp_gt_u16_e64 s0, 36, v189
	s_and_saveexec_b32 s1, s0
	s_cbranch_execz .LBB0_13
; %bb.12:
	ds_read_b128 v[132:135], v190 offset:5184
	ds_read_b128 v[148:151], v190 offset:10944
	;; [unrolled: 1-line block ×3, first 2 shown]
.LBB0_13:
	s_or_b32 exec_lo, exec_lo, s1
	v_lshlrev_b32_e32 v108, 5, v189
	v_add_co_u32 v124, s1, 0x144, v189
	v_add_co_ci_u32_e64 v125, null, 0, 0, s1
	v_add_co_u32 v102, s1, s4, v108
	v_add_co_ci_u32_e64 v103, null, s5, 0, s1
	v_lshlrev_b32_e32 v104, 5, v200
	v_add_co_u32 v100, s1, 0x1620, v102
	v_add_co_ci_u32_e64 v101, s1, 0, v103, s1
	v_add_co_u32 v106, s1, s4, v104
	v_add_co_ci_u32_e64 v107, null, s5, 0, s1
	v_add_co_u32 v102, s1, 0x1000, v102
	v_add_co_ci_u32_e64 v103, s1, 0, v103, s1
	v_add_co_u32 v104, s1, 0x1620, v106
	v_add_co_ci_u32_e64 v105, s1, 0, v107, s1
	;; [unrolled: 2-line block ×3, first 2 shown]
	v_add_co_u32 v126, s1, 0xffffffdc, v189
	v_add_co_ci_u32_e64 v127, null, 0, -1, s1
	s_clause 0x1
	global_load_dwordx4 v[116:119], v[102:103], off offset:1568
	global_load_dwordx4 v[120:123], v[100:101], off offset:16
	v_add_nc_u32_e32 v102, 0x1b00, v108
	v_cndmask_b32_e64 v100, v126, v124, s0
	v_cndmask_b32_e64 v101, v127, v125, s0
	s_clause 0x1
	global_load_dwordx4 v[108:111], v[106:107], off offset:1568
	global_load_dwordx4 v[112:115], v[104:105], off offset:16
	v_lshl_add_u32 v196, v199, 4, v196
	v_add_co_u32 v104, s1, s4, v102
	v_add_co_ci_u32_e64 v105, null, s5, 0, s1
	v_lshlrev_b64 v[100:101], 5, v[100:101]
	v_add_co_u32 v102, s1, 0x1620, v104
	v_add_co_ci_u32_e64 v103, s1, 0, v105, s1
	v_add_co_u32 v106, s1, s4, v100
	v_add_co_ci_u32_e64 v107, s1, s5, v101, s1
	;; [unrolled: 2-line block ×5, first 2 shown]
	s_clause 0x3
	global_load_dwordx4 v[124:127], v[100:101], off offset:1568
	global_load_dwordx4 v[128:131], v[102:103], off offset:16
	;; [unrolled: 1-line block ×4, first 2 shown]
	s_mov_b32 s4, 0xe8584caa
	s_mov_b32 s5, 0x3febb67a
	;; [unrolled: 1-line block ×3, first 2 shown]
	s_waitcnt vmcnt(7) lgkmcnt(4)
	v_mul_f64 v[200:201], v[178:179], v[118:119]
	v_mul_f64 v[202:203], v[176:177], v[118:119]
	s_waitcnt vmcnt(6)
	v_mul_f64 v[204:205], v[170:171], v[122:123]
	v_mul_f64 v[206:207], v[168:169], v[122:123]
	s_waitcnt vmcnt(5) lgkmcnt(2)
	v_mul_f64 v[208:209], v[174:175], v[110:111]
	s_waitcnt vmcnt(4)
	v_mul_f64 v[210:211], v[158:159], v[114:115]
	v_mul_f64 v[212:213], v[172:173], v[110:111]
	;; [unrolled: 1-line block ×3, first 2 shown]
	v_fma_f64 v[176:177], v[176:177], v[116:117], -v[200:201]
	v_fma_f64 v[178:179], v[178:179], v[116:117], v[202:203]
	v_fma_f64 v[168:169], v[168:169], v[120:121], -v[204:205]
	v_fma_f64 v[170:171], v[170:171], v[120:121], v[206:207]
	v_fma_f64 v[172:173], v[172:173], v[108:109], -v[208:209]
	v_fma_f64 v[156:157], v[156:157], v[112:113], -v[210:211]
	v_fma_f64 v[174:175], v[174:175], v[108:109], v[212:213]
	v_fma_f64 v[158:159], v[158:159], v[112:113], v[214:215]
	s_waitcnt vmcnt(3) lgkmcnt(1)
	v_mul_f64 v[216:217], v[162:163], v[126:127]
	s_waitcnt vmcnt(2) lgkmcnt(0)
	v_mul_f64 v[218:219], v[166:167], v[130:131]
	v_mul_f64 v[220:221], v[160:161], v[126:127]
	v_mul_f64 v[222:223], v[164:165], v[130:131]
	s_waitcnt vmcnt(1)
	v_mul_f64 v[224:225], v[150:151], v[102:103]
	s_waitcnt vmcnt(0)
	v_mul_f64 v[226:227], v[154:155], v[106:107]
	v_mul_f64 v[228:229], v[148:149], v[102:103]
	;; [unrolled: 1-line block ×3, first 2 shown]
	v_add_f64 v[210:211], v[140:141], v[176:177]
	v_add_f64 v[200:201], v[176:177], v[168:169]
	;; [unrolled: 1-line block ×3, first 2 shown]
	v_add_f64 v[214:215], v[178:179], -v[170:171]
	v_add_f64 v[204:205], v[172:173], v[156:157]
	v_add_f64 v[178:179], v[142:143], v[178:179]
	;; [unrolled: 1-line block ×3, first 2 shown]
	v_add_f64 v[176:177], v[176:177], -v[168:169]
	v_fma_f64 v[160:161], v[160:161], v[124:125], -v[216:217]
	v_fma_f64 v[164:165], v[164:165], v[128:129], -v[218:219]
	v_fma_f64 v[162:163], v[162:163], v[124:125], v[220:221]
	v_fma_f64 v[166:167], v[166:167], v[128:129], v[222:223]
	v_fma_f64 v[148:149], v[148:149], v[100:101], -v[224:225]
	v_fma_f64 v[152:153], v[152:153], v[104:105], -v[226:227]
	v_fma_f64 v[150:151], v[150:151], v[100:101], v[228:229]
	v_fma_f64 v[154:155], v[154:155], v[104:105], v[230:231]
	v_add_f64 v[220:221], v[136:137], v[172:173]
	v_add_f64 v[222:223], v[138:139], v[174:175]
	v_add_f64 v[174:175], v[174:175], -v[158:159]
	v_fma_f64 v[140:141], v[200:201], -0.5, v[140:141]
	v_fma_f64 v[142:143], v[202:203], -0.5, v[142:143]
	v_add_f64 v[200:201], v[172:173], -v[156:157]
	v_fma_f64 v[202:203], v[204:205], -0.5, v[136:137]
	v_fma_f64 v[206:207], v[206:207], -0.5, v[138:139]
	v_add_f64 v[224:225], v[144:145], v[160:161]
	v_add_f64 v[208:209], v[160:161], v[164:165]
	;; [unrolled: 1-line block ×8, first 2 shown]
	v_add_f64 v[204:205], v[162:163], -v[166:167]
	v_add_f64 v[232:233], v[160:161], -v[164:165]
	v_add_f64 v[160:161], v[220:221], v[156:157]
	v_add_f64 v[162:163], v[222:223], v[158:159]
	v_fma_f64 v[172:173], v[174:175], s[4:5], v[202:203]
	v_add_f64 v[136:137], v[224:225], v[164:165]
	v_fma_f64 v[144:145], v[208:209], -0.5, v[144:145]
	v_add_f64 v[208:209], v[150:151], -v[154:155]
	v_fma_f64 v[146:147], v[212:213], -0.5, v[146:147]
	v_add_f64 v[212:213], v[148:149], -v[152:153]
	v_fma_f64 v[216:217], v[216:217], -0.5, v[132:133]
	v_add_f64 v[132:133], v[210:211], v[168:169]
	v_fma_f64 v[210:211], v[218:219], -0.5, v[134:135]
	v_add_f64 v[134:135], v[178:179], v[170:171]
	v_add_f64 v[138:139], v[226:227], v[166:167]
	;; [unrolled: 1-line block ×4, first 2 shown]
	v_fma_f64 v[164:165], v[214:215], s[4:5], v[140:141]
	v_fma_f64 v[168:169], v[214:215], s[6:7], v[140:141]
	;; [unrolled: 1-line block ×7, first 2 shown]
	ds_write_b128 v190, v[132:135]
	ds_write_b128 v190, v[164:167] offset:5760
	ds_write_b128 v190, v[168:171] offset:11520
	v_fma_f64 v[140:141], v[204:205], s[4:5], v[144:145]
	v_fma_f64 v[144:145], v[204:205], s[6:7], v[144:145]
	;; [unrolled: 1-line block ×8, first 2 shown]
	ds_write_b128 v190, v[160:163] offset:1728
	ds_write_b128 v190, v[172:175] offset:7488
	;; [unrolled: 1-line block ×6, first 2 shown]
	s_and_saveexec_b32 s1, s0
	s_cbranch_execz .LBB0_15
; %bb.14:
	ds_write_b128 v190, v[148:151] offset:5184
	ds_write_b128 v190, v[152:155] offset:10944
	ds_write_b128 v190, v[156:159] offset:16704
.LBB0_15:
	s_or_b32 exec_lo, exec_lo, s1
	v_add_co_u32 v132, s1, 0x4000, v180
	v_add_co_ci_u32_e64 v133, s1, 0, v181, s1
	v_add_co_u32 v160, s1, 0x4800, v180
	v_add_co_ci_u32_e64 v161, s1, 0, v181, s1
	;; [unrolled: 2-line block ×5, first 2 shown]
	v_add_co_u32 v176, s1, 0x7800, v180
	s_waitcnt lgkmcnt(0)
	s_barrier
	buffer_gl0_inv
	s_clause 0x2
	global_load_dwordx4 v[132:135], v[132:133], off offset:896
	global_load_dwordx4 v[160:163], v[160:161], off offset:1728
	;; [unrolled: 1-line block ×3, first 2 shown]
	v_add_co_ci_u32_e64 v177, s1, 0, v181, s1
	s_clause 0x2
	global_load_dwordx4 v[168:171], v[168:169], off offset:1344
	global_load_dwordx4 v[172:175], v[172:173], off offset:128
	;; [unrolled: 1-line block ×3, first 2 shown]
	ds_read_b128 v[199:202], v190
	ds_read_b128 v[203:206], v190 offset:2880
	ds_read_b128 v[207:210], v190 offset:5760
	;; [unrolled: 1-line block ×5, first 2 shown]
	s_waitcnt vmcnt(5) lgkmcnt(5)
	v_mul_f64 v[223:224], v[201:202], v[134:135]
	v_mul_f64 v[134:135], v[199:200], v[134:135]
	s_waitcnt vmcnt(4) lgkmcnt(4)
	v_mul_f64 v[225:226], v[205:206], v[162:163]
	v_mul_f64 v[162:163], v[203:204], v[162:163]
	s_waitcnt vmcnt(3) lgkmcnt(3)
	v_mul_f64 v[227:228], v[209:210], v[166:167]
	v_mul_f64 v[166:167], v[207:208], v[166:167]
	s_waitcnt vmcnt(2) lgkmcnt(2)
	v_mul_f64 v[229:230], v[213:214], v[170:171]
	v_mul_f64 v[170:171], v[211:212], v[170:171]
	s_waitcnt vmcnt(1) lgkmcnt(1)
	v_mul_f64 v[231:232], v[217:218], v[174:175]
	v_mul_f64 v[174:175], v[215:216], v[174:175]
	s_waitcnt vmcnt(0) lgkmcnt(0)
	v_mul_f64 v[233:234], v[221:222], v[178:179]
	v_mul_f64 v[178:179], v[219:220], v[178:179]
	v_fma_f64 v[199:200], v[199:200], v[132:133], -v[223:224]
	v_fma_f64 v[201:202], v[201:202], v[132:133], v[134:135]
	v_fma_f64 v[132:133], v[203:204], v[160:161], -v[225:226]
	v_fma_f64 v[134:135], v[205:206], v[160:161], v[162:163]
	;; [unrolled: 2-line block ×6, first 2 shown]
	ds_write_b128 v190, v[199:202]
	ds_write_b128 v190, v[132:135] offset:2880
	ds_write_b128 v190, v[160:163] offset:5760
	;; [unrolled: 1-line block ×5, first 2 shown]
	s_and_saveexec_b32 s4, vcc_lo
	s_cbranch_execz .LBB0_17
; %bb.16:
	v_add_co_u32 v168, s1, 0x4380, v180
	v_add_co_ci_u32_e64 v169, s1, 0, v181, s1
	v_add_co_u32 v160, s1, 0x1000, v168
	v_add_co_ci_u32_e64 v161, s1, 0, v169, s1
	;; [unrolled: 2-line block ×5, first 2 shown]
	v_add_co_u32 v176, s1, 0x3800, v168
	s_clause 0x2
	global_load_dwordx4 v[132:135], v[168:169], off offset:1728
	global_load_dwordx4 v[160:163], v[160:161], off offset:512
	global_load_dwordx4 v[164:167], v[164:165], off offset:1344
	v_add_co_ci_u32_e64 v177, s1, 0, v169, s1
	s_clause 0x2
	global_load_dwordx4 v[168:171], v[170:171], off offset:128
	global_load_dwordx4 v[172:175], v[172:173], off offset:960
	;; [unrolled: 1-line block ×3, first 2 shown]
	ds_read_b128 v[199:202], v190 offset:1728
	ds_read_b128 v[203:206], v190 offset:4608
	ds_read_b128 v[207:210], v190 offset:7488
	ds_read_b128 v[211:214], v190 offset:10368
	ds_read_b128 v[215:218], v190 offset:13248
	ds_read_b128 v[219:222], v190 offset:16128
	s_waitcnt vmcnt(5) lgkmcnt(5)
	v_mul_f64 v[223:224], v[201:202], v[134:135]
	v_mul_f64 v[134:135], v[199:200], v[134:135]
	s_waitcnt vmcnt(4) lgkmcnt(4)
	v_mul_f64 v[225:226], v[205:206], v[162:163]
	v_mul_f64 v[162:163], v[203:204], v[162:163]
	;; [unrolled: 3-line block ×6, first 2 shown]
	v_fma_f64 v[199:200], v[199:200], v[132:133], -v[223:224]
	v_fma_f64 v[201:202], v[201:202], v[132:133], v[134:135]
	v_fma_f64 v[132:133], v[203:204], v[160:161], -v[225:226]
	v_fma_f64 v[134:135], v[205:206], v[160:161], v[162:163]
	;; [unrolled: 2-line block ×6, first 2 shown]
	ds_write_b128 v190, v[199:202] offset:1728
	ds_write_b128 v190, v[132:135] offset:4608
	;; [unrolled: 1-line block ×6, first 2 shown]
.LBB0_17:
	s_or_b32 exec_lo, exec_lo, s4
	s_waitcnt lgkmcnt(0)
	s_barrier
	buffer_gl0_inv
	ds_read_b128 v[164:167], v190
	ds_read_b128 v[168:171], v190 offset:2880
	ds_read_b128 v[176:179], v190 offset:5760
	;; [unrolled: 1-line block ×5, first 2 shown]
	s_and_saveexec_b32 s1, vcc_lo
	s_cbranch_execz .LBB0_19
; %bb.18:
	v_lshl_add_u32 v156, v189, 4, v191
	ds_read_b128 v[136:139], v190 offset:1728
	ds_read_b128 v[144:147], v190 offset:7488
	;; [unrolled: 1-line block ×6, first 2 shown]
.LBB0_19:
	s_or_b32 exec_lo, exec_lo, s1
	s_waitcnt lgkmcnt(0)
	v_add_f64 v[199:200], v[174:175], v[134:135]
	v_add_f64 v[201:202], v[150:151], v[158:159]
	v_add_f64 v[205:206], v[172:173], -v[132:133]
	v_add_f64 v[207:208], v[148:149], v[156:157]
	v_add_f64 v[209:210], v[148:149], -v[156:157]
	v_add_f64 v[203:204], v[172:173], v[132:133]
	s_mov_b32 s4, 0xe8584caa
	s_mov_b32 s5, 0xbfebb67a
	;; [unrolled: 1-line block ×4, first 2 shown]
	v_add_f64 v[211:212], v[176:177], v[160:161]
	v_add_f64 v[213:214], v[178:179], v[162:163]
	;; [unrolled: 1-line block ×3, first 2 shown]
	v_add_f64 v[221:222], v[150:151], -v[158:159]
	v_add_f64 v[215:216], v[174:175], -v[134:135]
	;; [unrolled: 1-line block ×3, first 2 shown]
	v_add_f64 v[178:179], v[166:167], v[178:179]
	s_barrier
	buffer_gl0_inv
	v_fma_f64 v[199:200], v[199:200], -0.5, v[170:171]
	v_fma_f64 v[201:202], v[201:202], -0.5, v[142:143]
	v_add_f64 v[170:171], v[170:171], v[174:175]
	v_fma_f64 v[207:208], v[207:208], -0.5, v[140:141]
	v_add_f64 v[174:175], v[144:145], -v[152:153]
	v_fma_f64 v[203:204], v[203:204], -0.5, v[168:169]
	v_add_f64 v[168:169], v[168:169], v[172:173]
	v_add_f64 v[172:173], v[146:147], -v[154:155]
	v_fma_f64 v[166:167], v[213:214], -0.5, v[166:167]
	v_fma_f64 v[219:220], v[219:220], -0.5, v[138:139]
	v_add_f64 v[162:163], v[178:179], v[162:163]
	v_fma_f64 v[217:218], v[205:206], s[6:7], v[199:200]
	v_fma_f64 v[199:200], v[205:206], s[4:5], v[199:200]
	v_add_f64 v[205:206], v[144:145], v[152:153]
	v_fma_f64 v[223:224], v[209:210], s[6:7], v[201:202]
	v_fma_f64 v[201:202], v[209:210], s[4:5], v[201:202]
	v_add_f64 v[209:210], v[164:165], v[176:177]
	v_add_f64 v[176:177], v[176:177], -v[160:161]
	v_fma_f64 v[164:165], v[211:212], -0.5, v[164:165]
	v_fma_f64 v[227:228], v[221:222], s[4:5], v[207:208]
	v_fma_f64 v[207:208], v[221:222], s[6:7], v[207:208]
	;; [unrolled: 1-line block ×4, first 2 shown]
	v_add_f64 v[132:133], v[168:169], v[132:133]
	v_add_f64 v[134:135], v[170:171], v[134:135]
	v_mul_f64 v[213:214], v[217:218], s[4:5]
	v_mul_f64 v[217:218], v[217:218], 0.5
	v_fma_f64 v[205:206], v[205:206], -0.5, v[136:137]
	v_mul_f64 v[221:222], v[223:224], s[4:5]
	v_mul_f64 v[229:230], v[201:202], s[4:5]
	v_mul_f64 v[223:224], v[223:224], 0.5
	v_mul_f64 v[201:202], v[201:202], -0.5
	v_mul_f64 v[215:216], v[199:200], s[4:5]
	v_mul_f64 v[199:200], v[199:200], -0.5
	v_add_f64 v[160:161], v[209:210], v[160:161]
	v_fma_f64 v[231:232], v[225:226], s[4:5], v[164:165]
	v_fma_f64 v[225:226], v[225:226], s[6:7], v[164:165]
	;; [unrolled: 1-line block ×4, first 2 shown]
	v_fma_f64 v[237:238], v[211:212], 0.5, v[213:214]
	v_fma_f64 v[217:218], v[211:212], s[6:7], v[217:218]
	v_fma_f64 v[164:165], v[172:173], s[4:5], v[205:206]
	;; [unrolled: 1-line block ×5, first 2 shown]
	v_fma_f64 v[168:169], v[227:228], 0.5, v[221:222]
	v_fma_f64 v[170:171], v[207:208], -0.5, v[229:230]
	v_fma_f64 v[176:177], v[227:228], s[6:7], v[223:224]
	v_fma_f64 v[178:179], v[207:208], s[6:7], v[201:202]
	v_fma_f64 v[239:240], v[203:204], -0.5, v[215:216]
	v_fma_f64 v[241:242], v[203:204], s[6:7], v[199:200]
	v_add_f64 v[199:200], v[160:161], v[132:133]
	v_add_f64 v[201:202], v[162:163], v[134:135]
	v_add_f64 v[203:204], v[160:161], -v[132:133]
	v_add_f64 v[205:206], v[162:163], -v[134:135]
	v_add_f64 v[207:208], v[231:232], v[237:238]
	v_add_f64 v[209:210], v[233:234], v[217:218]
	v_add_f64 v[215:216], v[231:232], -v[237:238]
	v_add_f64 v[217:218], v[233:234], -v[217:218]
	;; [unrolled: 1-line block ×6, first 2 shown]
	v_add_f64 v[211:212], v[225:226], v[239:240]
	v_add_f64 v[213:214], v[235:236], v[241:242]
	v_add_f64 v[219:220], v[225:226], -v[239:240]
	v_add_f64 v[221:222], v[235:236], -v[241:242]
	ds_write_b128 v195, v[199:202]
	ds_write_b128 v195, v[203:206] offset:48
	ds_write_b128 v195, v[207:210] offset:16
	;; [unrolled: 1-line block ×5, first 2 shown]
	s_and_saveexec_b32 s1, vcc_lo
	s_cbranch_execz .LBB0_21
; %bb.20:
	v_add_f64 v[138:139], v[138:139], v[146:147]
	v_add_f64 v[142:143], v[142:143], v[150:151]
	;; [unrolled: 1-line block ×12, first 2 shown]
	v_add_f64 v[146:147], v[144:145], -v[148:149]
	v_add_f64 v[150:151], v[144:145], v[148:149]
	v_add_f64 v[148:149], v[152:153], v[154:155]
	v_add_f64 v[144:145], v[152:153], -v[154:155]
	v_lshl_add_u32 v152, v194, 4, v191
	ds_write_b128 v152, v[132:135] offset:64
	ds_write_b128 v152, v[140:143] offset:16
	;; [unrolled: 1-line block ×3, first 2 shown]
	ds_write_b128 v152, v[148:151]
	ds_write_b128 v152, v[144:147] offset:48
	ds_write_b128 v152, v[160:163] offset:80
.LBB0_21:
	s_or_b32 exec_lo, exec_lo, s1
	s_waitcnt lgkmcnt(0)
	s_barrier
	buffer_gl0_inv
	ds_read_b128 v[136:139], v190 offset:5184
	ds_read_b128 v[140:143], v190 offset:8640
	ds_read_b128 v[144:147], v190 offset:12096
	ds_read_b128 v[148:151], v190 offset:15552
	ds_read_b128 v[152:155], v190 offset:1728
	ds_read_b128 v[156:159], v190 offset:3456
	ds_read_b128 v[164:167], v190 offset:6912
	ds_read_b128 v[168:171], v190 offset:10368
	ds_read_b128 v[172:175], v190 offset:13824
	ds_read_b128 v[176:179], v190
	s_mov_b32 s12, 0x134454ff
	s_mov_b32 s13, 0xbfee6f0e
	;; [unrolled: 1-line block ×10, first 2 shown]
	s_waitcnt lgkmcnt(9)
	v_mul_f64 v[194:195], v[30:31], v[136:137]
	s_waitcnt lgkmcnt(8)
	v_mul_f64 v[199:200], v[38:39], v[140:141]
	;; [unrolled: 2-line block ×5, first 2 shown]
	v_mul_f64 v[30:31], v[30:31], v[138:139]
	v_mul_f64 v[38:39], v[38:39], v[142:143]
	;; [unrolled: 1-line block ×4, first 2 shown]
	s_waitcnt lgkmcnt(4)
	v_mul_f64 v[207:208], v[58:59], v[158:159]
	v_mul_f64 v[58:59], v[58:59], v[156:157]
	s_waitcnt lgkmcnt(1)
	v_mul_f64 v[213:214], v[46:47], v[172:173]
	v_mul_f64 v[46:47], v[46:47], v[174:175]
	;; [unrolled: 1-line block ×7, first 2 shown]
	s_mov_b32 s21, 0xbfd3c6ef
	s_mov_b32 s20, s4
	;; [unrolled: 1-line block ×4, first 2 shown]
	v_fma_f64 v[138:139], v[28:29], v[138:139], -v[194:195]
	v_fma_f64 v[142:143], v[36:37], v[142:143], -v[199:200]
	;; [unrolled: 1-line block ×4, first 2 shown]
	s_waitcnt lgkmcnt(0)
	v_fma_f64 v[28:29], v[28:29], v[136:137], v[30:31]
	v_fma_f64 v[36:37], v[36:37], v[140:141], v[38:39]
	;; [unrolled: 1-line block ×4, first 2 shown]
	v_fma_f64 v[40:41], v[24:25], v[154:155], -v[205:206]
	v_fma_f64 v[156:157], v[56:57], v[156:157], v[207:208]
	v_fma_f64 v[56:57], v[56:57], v[158:159], -v[58:59]
	v_fma_f64 v[58:59], v[44:45], v[174:175], -v[213:214]
	v_fma_f64 v[38:39], v[44:45], v[172:173], v[46:47]
	v_fma_f64 v[30:31], v[52:53], v[164:165], v[209:210]
	v_fma_f64 v[52:53], v[52:53], v[166:167], -v[54:55]
	v_fma_f64 v[54:55], v[48:49], v[168:169], v[211:212]
	v_fma_f64 v[48:49], v[48:49], v[170:171], -v[50:51]
	v_fma_f64 v[24:25], v[24:25], v[152:153], v[26:27]
	s_barrier
	buffer_gl0_inv
	v_add_f64 v[205:206], v[138:139], -v[142:143]
	v_add_f64 v[42:43], v[142:143], v[146:147]
	v_add_f64 v[44:45], v[138:139], v[150:151]
	v_add_f64 v[203:204], v[138:139], -v[150:151]
	v_add_f64 v[207:208], v[150:151], -v[146:147]
	;; [unrolled: 1-line block ×3, first 2 shown]
	v_add_f64 v[148:149], v[36:37], v[32:33]
	v_add_f64 v[152:153], v[28:29], v[34:35]
	v_add_f64 v[154:155], v[28:29], -v[34:35]
	v_add_f64 v[158:159], v[36:37], -v[32:33]
	v_add_f64 v[26:27], v[176:177], v[156:157]
	v_add_f64 v[201:202], v[56:57], v[58:59]
	;; [unrolled: 1-line block ×3, first 2 shown]
	v_add_f64 v[140:141], v[156:157], -v[30:31]
	v_add_f64 v[209:210], v[142:143], -v[138:139]
	v_add_f64 v[46:47], v[30:31], v[54:55]
	v_add_f64 v[144:145], v[38:39], -v[54:55]
	v_add_f64 v[172:173], v[52:53], v[48:49]
	;; [unrolled: 2-line block ×3, first 2 shown]
	v_add_f64 v[50:51], v[56:57], -v[58:59]
	v_add_f64 v[136:137], v[52:53], -v[48:49]
	;; [unrolled: 1-line block ×3, first 2 shown]
	v_fma_f64 v[42:43], v[42:43], -0.5, v[40:41]
	v_fma_f64 v[44:45], v[44:45], -0.5, v[40:41]
	v_add_f64 v[40:41], v[40:41], v[138:139]
	v_add_f64 v[168:169], v[54:55], -v[38:39]
	v_add_f64 v[156:157], v[156:157], -v[38:39]
	v_fma_f64 v[148:149], v[148:149], -0.5, v[24:25]
	v_fma_f64 v[152:153], v[152:153], -0.5, v[24:25]
	v_add_f64 v[24:25], v[24:25], v[28:29]
	v_add_f64 v[174:175], v[30:31], -v[54:55]
	v_add_f64 v[221:222], v[28:29], -v[36:37]
	v_add_f64 v[223:224], v[34:35], -v[32:33]
	v_add_f64 v[26:27], v[26:27], v[30:31]
	v_fma_f64 v[30:31], v[164:165], -0.5, v[176:177]
	v_add_f64 v[164:165], v[205:206], v[207:208]
	v_fma_f64 v[46:47], v[46:47], -0.5, v[176:177]
	;; [unrolled: 2-line block ×3, first 2 shown]
	v_fma_f64 v[144:145], v[201:202], -0.5, v[178:179]
	v_add_f64 v[28:29], v[36:37], -v[28:29]
	v_add_f64 v[225:226], v[32:33], -v[34:35]
	v_add_f64 v[172:173], v[209:210], v[211:212]
	v_add_f64 v[194:195], v[56:57], -v[52:53]
	v_fma_f64 v[217:218], v[154:155], s[6:7], v[42:43]
	v_fma_f64 v[219:220], v[158:159], s[12:13], v[44:45]
	v_fma_f64 v[44:45], v[158:159], s[6:7], v[44:45]
	v_fma_f64 v[42:43], v[154:155], s[12:13], v[42:43]
	v_add_f64 v[56:57], v[52:53], -v[56:57]
	v_fma_f64 v[176:177], v[203:204], s[12:13], v[148:149]
	v_fma_f64 v[178:179], v[213:214], s[6:7], v[152:153]
	;; [unrolled: 1-line block ×4, first 2 shown]
	v_add_f64 v[52:53], v[170:171], v[52:53]
	v_add_f64 v[24:25], v[24:25], v[36:37]
	;; [unrolled: 1-line block ×3, first 2 shown]
	v_add_f64 v[199:200], v[58:59], -v[48:49]
	v_add_f64 v[36:37], v[221:222], v[223:224]
	v_fma_f64 v[142:143], v[50:51], s[12:13], v[46:47]
	v_add_f64 v[215:216], v[48:49], -v[58:59]
	v_fma_f64 v[46:47], v[50:51], s[6:7], v[46:47]
	v_add_f64 v[26:27], v[26:27], v[54:55]
	v_add_f64 v[28:29], v[28:29], v[225:226]
	v_fma_f64 v[201:202], v[158:159], s[16:17], v[217:218]
	v_fma_f64 v[205:206], v[154:155], s[16:17], v[219:220]
	;; [unrolled: 1-line block ×4, first 2 shown]
	v_add_f64 v[154:155], v[166:167], v[168:169]
	v_fma_f64 v[158:159], v[136:137], s[6:7], v[30:31]
	v_fma_f64 v[30:31], v[136:137], s[12:13], v[30:31]
	v_fma_f64 v[166:167], v[156:157], s[6:7], v[140:141]
	v_fma_f64 v[170:171], v[213:214], s[14:15], v[176:177]
	v_fma_f64 v[176:177], v[203:204], s[14:15], v[178:179]
	v_fma_f64 v[140:141], v[156:157], s[12:13], v[140:141]
	v_fma_f64 v[168:169], v[174:175], s[12:13], v[144:145]
	v_fma_f64 v[144:145], v[174:175], s[6:7], v[144:145]
	v_fma_f64 v[148:149], v[213:214], s[16:17], v[148:149]
	v_fma_f64 v[152:153], v[203:204], s[16:17], v[152:153]
	v_add_f64 v[48:49], v[52:53], v[48:49]
	v_add_f64 v[24:25], v[24:25], v[32:33]
	;; [unrolled: 1-line block ×3, first 2 shown]
	v_fma_f64 v[40:41], v[136:137], s[14:15], v[142:143]
	v_add_f64 v[56:57], v[56:57], v[215:216]
	v_fma_f64 v[46:47], v[136:137], s[16:17], v[46:47]
	v_add_f64 v[26:27], v[26:27], v[38:39]
	v_fma_f64 v[178:179], v[164:165], s[4:5], v[201:202]
	v_fma_f64 v[201:202], v[172:173], s[4:5], v[205:206]
	;; [unrolled: 1-line block ×4, first 2 shown]
	v_add_f64 v[164:165], v[194:195], v[199:200]
	v_fma_f64 v[52:53], v[50:51], s[14:15], v[158:159]
	v_fma_f64 v[30:31], v[50:51], s[16:17], v[30:31]
	;; [unrolled: 1-line block ×10, first 2 shown]
	v_add_f64 v[48:49], v[48:49], v[58:59]
	v_add_f64 v[24:25], v[24:25], v[34:35]
	v_add_f64 v[32:33], v[32:33], v[150:151]
	v_fma_f64 v[34:35], v[138:139], s[4:5], v[40:41]
	v_fma_f64 v[150:151], v[138:139], s[4:5], v[46:47]
	v_mul_f64 v[146:147], v[178:179], s[14:15]
	v_mul_f64 v[158:159], v[178:179], s[18:19]
	;; [unrolled: 1-line block ×8, first 2 shown]
	v_fma_f64 v[52:53], v[154:155], s[4:5], v[52:53]
	v_fma_f64 v[30:31], v[154:155], s[4:5], v[30:31]
	;; [unrolled: 1-line block ×6, first 2 shown]
	v_add_f64 v[40:41], v[26:27], -v[24:25]
	v_add_f64 v[38:39], v[48:49], v[32:33]
	v_fma_f64 v[146:147], v[142:143], s[18:19], v[146:147]
	v_fma_f64 v[142:143], v[142:143], s[16:17], v[158:159]
	;; [unrolled: 1-line block ×8, first 2 shown]
	v_add_f64 v[36:37], v[26:27], v[24:25]
	v_add_f64 v[42:43], v[48:49], -v[32:33]
	v_add_f64 v[44:45], v[34:35], v[146:147]
	v_add_f64 v[46:47], v[154:155], v[142:143]
	;; [unrolled: 1-line block ×8, first 2 shown]
	v_add_f64 v[24:25], v[34:35], -v[146:147]
	v_add_f64 v[26:27], v[154:155], -v[142:143]
	;; [unrolled: 1-line block ×8, first 2 shown]
	ds_write_b128 v197, v[36:39]
	ds_write_b128 v197, v[40:43] offset:480
	ds_write_b128 v197, v[44:47] offset:96
	ds_write_b128 v197, v[48:51] offset:192
	ds_write_b128 v197, v[56:59] offset:288
	ds_write_b128 v197, v[136:139] offset:384
	ds_write_b128 v197, v[24:27] offset:576
	ds_write_b128 v197, v[28:31] offset:672
	ds_write_b128 v197, v[32:35] offset:768
	ds_write_b128 v197, v[52:55] offset:864
	s_waitcnt lgkmcnt(0)
	s_barrier
	buffer_gl0_inv
	ds_read_b128 v[36:39], v190
	ds_read_b128 v[40:43], v190 offset:2880
	ds_read_b128 v[44:47], v190 offset:5760
	;; [unrolled: 1-line block ×5, first 2 shown]
	s_and_saveexec_b32 s1, vcc_lo
	s_cbranch_execz .LBB0_23
; %bb.22:
	ds_read_b128 v[24:27], v190 offset:1728
	ds_read_b128 v[28:31], v190 offset:4608
	;; [unrolled: 1-line block ×6, first 2 shown]
.LBB0_23:
	s_or_b32 exec_lo, exec_lo, s1
	s_waitcnt lgkmcnt(2)
	v_mul_f64 v[140:141], v[90:91], v[56:57]
	s_waitcnt lgkmcnt(0)
	v_mul_f64 v[142:143], v[94:95], v[136:137]
	v_mul_f64 v[144:145], v[86:87], v[52:53]
	;; [unrolled: 1-line block ×9, first 2 shown]
	s_mov_b32 s4, 0xe8584caa
	s_mov_b32 s5, 0xbfebb67a
	;; [unrolled: 1-line block ×4, first 2 shown]
	s_barrier
	buffer_gl0_inv
	v_fma_f64 v[58:59], v[88:89], v[58:59], -v[140:141]
	v_fma_f64 v[138:139], v[92:93], v[138:139], -v[142:143]
	v_mul_f64 v[140:141], v[62:63], v[28:29]
	v_fma_f64 v[54:55], v[84:85], v[54:55], -v[144:145]
	v_fma_f64 v[142:143], v[96:97], v[162:163], -v[146:147]
	v_mul_f64 v[144:145], v[82:83], v[46:47]
	v_mul_f64 v[82:83], v[82:83], v[44:45]
	;; [unrolled: 1-line block ×5, first 2 shown]
	v_fma_f64 v[56:57], v[88:89], v[56:57], v[90:91]
	v_fma_f64 v[88:89], v[92:93], v[136:137], v[94:95]
	v_fma_f64 v[42:43], v[72:73], v[42:43], -v[148:149]
	v_mul_f64 v[92:93], v[70:71], v[34:35]
	v_mul_f64 v[70:71], v[70:71], v[32:33]
	;; [unrolled: 1-line block ×4, first 2 shown]
	v_fma_f64 v[52:53], v[84:85], v[52:53], v[86:87]
	v_fma_f64 v[84:85], v[96:97], v[160:161], v[98:99]
	;; [unrolled: 1-line block ×3, first 2 shown]
	v_add_f64 v[90:91], v[58:59], v[138:139]
	v_fma_f64 v[30:31], v[60:61], v[30:31], -v[140:141]
	v_add_f64 v[86:87], v[54:55], v[142:143]
	v_fma_f64 v[44:45], v[80:81], v[44:45], v[144:145]
	v_fma_f64 v[46:47], v[80:81], v[46:47], -v[82:83]
	v_fma_f64 v[48:49], v[76:77], v[48:49], v[146:147]
	v_fma_f64 v[50:51], v[76:77], v[50:51], -v[78:79]
	v_fma_f64 v[28:29], v[60:61], v[28:29], v[62:63]
	v_add_f64 v[72:73], v[56:57], v[88:89]
	v_add_f64 v[74:75], v[56:57], -v[88:89]
	v_fma_f64 v[32:33], v[68:69], v[32:33], v[92:93]
	v_fma_f64 v[34:35], v[68:69], v[34:35], -v[70:71]
	v_fma_f64 v[68:69], v[64:65], v[132:133], v[94:95]
	v_fma_f64 v[64:65], v[64:65], v[134:135], -v[66:67]
	v_add_f64 v[92:93], v[54:55], -v[142:143]
	v_add_f64 v[60:61], v[52:53], v[84:85]
	v_add_f64 v[62:63], v[52:53], -v[84:85]
	v_fma_f64 v[76:77], v[90:91], -0.5, v[42:43]
	v_add_f64 v[42:43], v[42:43], v[58:59]
	v_fma_f64 v[66:67], v[86:87], -0.5, v[30:31]
	v_add_f64 v[70:71], v[36:37], v[44:45]
	v_add_f64 v[82:83], v[38:39], v[46:47]
	;; [unrolled: 1-line block ×3, first 2 shown]
	v_add_f64 v[80:81], v[46:47], -v[50:51]
	v_add_f64 v[46:47], v[46:47], v[50:51]
	v_add_f64 v[86:87], v[58:59], -v[138:139]
	v_fma_f64 v[72:73], v[72:73], -0.5, v[40:41]
	v_add_f64 v[90:91], v[44:45], -v[48:49]
	v_add_f64 v[40:41], v[40:41], v[56:57]
	v_add_f64 v[30:31], v[30:31], v[54:55]
	v_add_f64 v[56:57], v[32:33], v[68:69]
	v_add_f64 v[94:95], v[34:35], -v[64:65]
	v_fma_f64 v[60:61], v[60:61], -0.5, v[28:29]
	v_add_f64 v[28:29], v[28:29], v[52:53]
	v_fma_f64 v[44:45], v[74:75], s[6:7], v[76:77]
	v_fma_f64 v[74:75], v[74:75], s[4:5], v[76:77]
	v_add_f64 v[76:77], v[34:35], v[64:65]
	v_fma_f64 v[58:59], v[62:63], s[6:7], v[66:67]
	v_fma_f64 v[62:63], v[62:63], s[4:5], v[66:67]
	v_add_f64 v[66:67], v[24:25], v[32:33]
	v_add_f64 v[34:35], v[26:27], v[34:35]
	v_add_f64 v[32:33], v[32:33], -v[68:69]
	v_add_f64 v[70:71], v[70:71], v[48:49]
	v_fma_f64 v[48:49], v[78:79], -0.5, v[36:37]
	v_add_f64 v[78:79], v[82:83], v[50:51]
	v_fma_f64 v[50:51], v[46:47], -0.5, v[38:39]
	v_fma_f64 v[52:53], v[86:87], s[4:5], v[72:73]
	v_fma_f64 v[54:55], v[86:87], s[6:7], v[72:73]
	v_fma_f64 v[24:25], v[56:57], -0.5, v[24:25]
	v_add_f64 v[88:89], v[40:41], v[88:89]
	v_add_f64 v[96:97], v[42:43], v[138:139]
	v_fma_f64 v[56:57], v[92:93], s[4:5], v[60:61]
	v_fma_f64 v[60:61], v[92:93], s[6:7], v[60:61]
	v_add_f64 v[38:39], v[28:29], v[84:85]
	v_add_f64 v[46:47], v[30:31], v[142:143]
	v_mul_f64 v[72:73], v[44:45], s[4:5]
	v_mul_f64 v[82:83], v[74:75], s[4:5]
	v_mul_f64 v[86:87], v[44:45], 0.5
	v_mul_f64 v[74:75], v[74:75], -0.5
	v_fma_f64 v[26:27], v[76:77], -0.5, v[26:27]
	v_mul_f64 v[76:77], v[58:59], s[4:5]
	v_mul_f64 v[92:93], v[62:63], s[4:5]
	v_mul_f64 v[58:59], v[58:59], 0.5
	v_mul_f64 v[62:63], v[62:63], -0.5
	v_add_f64 v[36:37], v[66:67], v[68:69]
	v_add_f64 v[44:45], v[34:35], v[64:65]
	v_fma_f64 v[28:29], v[80:81], s[4:5], v[48:49]
	v_fma_f64 v[30:31], v[80:81], s[6:7], v[48:49]
	;; [unrolled: 1-line block ×6, first 2 shown]
	v_add_f64 v[64:65], v[70:71], -v[88:89]
	v_add_f64 v[66:67], v[78:79], -v[96:97]
	v_fma_f64 v[80:81], v[52:53], 0.5, v[72:73]
	v_fma_f64 v[82:83], v[54:55], -0.5, v[82:83]
	v_fma_f64 v[86:87], v[52:53], s[6:7], v[86:87]
	v_fma_f64 v[90:91], v[54:55], s[6:7], v[74:75]
	;; [unrolled: 1-line block ×4, first 2 shown]
	v_fma_f64 v[48:49], v[56:57], 0.5, v[76:77]
	v_fma_f64 v[50:51], v[60:61], -0.5, v[92:93]
	v_fma_f64 v[56:57], v[56:57], s[6:7], v[58:59]
	v_fma_f64 v[58:59], v[60:61], s[6:7], v[62:63]
	v_add_f64 v[60:61], v[70:71], v[88:89]
	v_add_f64 v[62:63], v[78:79], v[96:97]
	v_add_f64 v[24:25], v[36:37], -v[38:39]
	v_add_f64 v[26:27], v[44:45], -v[46:47]
	v_add_f64 v[68:69], v[28:29], v[80:81]
	v_add_f64 v[72:73], v[30:31], v[82:83]
	v_add_f64 v[70:71], v[34:35], v[86:87]
	v_add_f64 v[76:77], v[28:29], -v[80:81]
	v_add_f64 v[80:81], v[30:31], -v[82:83]
	;; [unrolled: 1-line block ×7, first 2 shown]
	v_add_f64 v[74:75], v[84:85], v[90:91]
	v_add_f64 v[82:83], v[84:85], -v[90:91]
	ds_write_b128 v198, v[60:63]
	ds_write_b128 v198, v[64:67] offset:2880
	ds_write_b128 v198, v[68:71] offset:960
	;; [unrolled: 1-line block ×5, first 2 shown]
	s_and_saveexec_b32 s1, vcc_lo
	s_cbranch_execz .LBB0_25
; %bb.24:
	v_add_f64 v[46:47], v[44:45], v[46:47]
	v_add_f64 v[44:45], v[36:37], v[38:39]
	v_mov_b32_e32 v36, 0x168
	v_add_f64 v[54:55], v[54:55], v[58:59]
	v_add_f64 v[58:59], v[52:53], v[56:57]
	;; [unrolled: 1-line block ×4, first 2 shown]
	v_mul_u32_u24_sdwa v36, v192, v36 dst_sel:DWORD dst_unused:UNUSED_PAD src0_sel:WORD_0 src1_sel:DWORD
	v_add_nc_u32_e32 v36, v36, v193
	v_lshl_add_u32 v36, v36, 4, v191
	ds_write_b128 v36, v[24:27] offset:2880
	ds_write_b128 v36, v[28:31] offset:3840
	ds_write_b128 v36, v[44:47]
	ds_write_b128 v36, v[56:59] offset:960
	ds_write_b128 v36, v[52:55] offset:1920
	;; [unrolled: 1-line block ×3, first 2 shown]
.LBB0_25:
	s_or_b32 exec_lo, exec_lo, s1
	s_waitcnt lgkmcnt(0)
	s_barrier
	buffer_gl0_inv
	ds_read_b128 v[44:47], v190
	ds_read_b128 v[36:39], v190 offset:1728
	ds_read_b128 v[60:63], v190 offset:11520
	;; [unrolled: 1-line block ×8, first 2 shown]
	v_add_nc_u32_e32 v72, 0xd80, v196
	s_and_saveexec_b32 s1, s0
	s_cbranch_execz .LBB0_27
; %bb.26:
	ds_read_b128 v[24:27], v190 offset:5184
	ds_read_b128 v[28:31], v190 offset:10944
	;; [unrolled: 1-line block ×3, first 2 shown]
.LBB0_27:
	s_or_b32 exec_lo, exec_lo, s1
	s_waitcnt lgkmcnt(4)
	v_mul_f64 v[73:74], v[118:119], v[70:71]
	v_mul_f64 v[75:76], v[122:123], v[62:63]
	;; [unrolled: 1-line block ×4, first 2 shown]
	s_waitcnt lgkmcnt(2)
	v_mul_f64 v[81:82], v[110:111], v[66:67]
	v_mul_f64 v[83:84], v[114:115], v[50:51]
	;; [unrolled: 1-line block ×4, first 2 shown]
	s_waitcnt lgkmcnt(1)
	v_mul_f64 v[89:90], v[126:127], v[54:55]
	s_waitcnt lgkmcnt(0)
	v_mul_f64 v[91:92], v[130:131], v[58:59]
	v_mul_f64 v[93:94], v[126:127], v[52:53]
	;; [unrolled: 1-line block ×3, first 2 shown]
	s_mov_b32 s6, s4
	v_fma_f64 v[68:69], v[116:117], v[68:69], v[73:74]
	v_fma_f64 v[60:61], v[120:121], v[60:61], v[75:76]
	v_fma_f64 v[70:71], v[116:117], v[70:71], -v[77:78]
	v_fma_f64 v[62:63], v[120:121], v[62:63], -v[79:80]
	v_fma_f64 v[64:65], v[108:109], v[64:65], v[81:82]
	v_fma_f64 v[48:49], v[112:113], v[48:49], v[83:84]
	v_fma_f64 v[66:67], v[108:109], v[66:67], -v[85:86]
	v_fma_f64 v[50:51], v[112:113], v[50:51], -v[87:88]
	;; [unrolled: 4-line block ×3, first 2 shown]
	v_add_f64 v[85:86], v[44:45], v[68:69]
	v_add_f64 v[73:74], v[68:69], v[60:61]
	v_add_f64 v[68:69], v[68:69], -v[60:61]
	v_add_f64 v[75:76], v[70:71], v[62:63]
	v_add_f64 v[87:88], v[70:71], -v[62:63]
	v_add_f64 v[77:78], v[64:65], v[48:49]
	v_add_f64 v[70:71], v[46:47], v[70:71]
	;; [unrolled: 1-line block ×9, first 2 shown]
	v_add_f64 v[66:67], v[66:67], -v[50:51]
	v_add_f64 v[64:65], v[64:65], -v[48:49]
	;; [unrolled: 1-line block ×4, first 2 shown]
	v_fma_f64 v[73:74], v[73:74], -0.5, v[44:45]
	v_fma_f64 v[75:76], v[75:76], -0.5, v[46:47]
	;; [unrolled: 1-line block ×3, first 2 shown]
	v_add_f64 v[36:37], v[85:86], v[60:61]
	v_fma_f64 v[79:80], v[79:80], -0.5, v[38:39]
	v_add_f64 v[38:39], v[70:71], v[62:63]
	v_fma_f64 v[81:82], v[81:82], -0.5, v[40:41]
	;; [unrolled: 2-line block ×3, first 2 shown]
	v_add_f64 v[42:43], v[91:92], v[50:51]
	v_add_f64 v[44:45], v[93:94], v[56:57]
	;; [unrolled: 1-line block ×3, first 2 shown]
	v_fma_f64 v[48:49], v[87:88], s[4:5], v[73:74]
	v_fma_f64 v[52:53], v[87:88], s[6:7], v[73:74]
	;; [unrolled: 1-line block ×12, first 2 shown]
	ds_write_b128 v190, v[36:39]
	ds_write_b128 v190, v[40:43] offset:1728
	ds_write_b128 v190, v[44:47] offset:3456
	;; [unrolled: 1-line block ×8, first 2 shown]
	s_and_saveexec_b32 s1, s0
	s_cbranch_execz .LBB0_29
; %bb.28:
	v_mul_f64 v[36:37], v[102:103], v[28:29]
	v_mul_f64 v[38:39], v[106:107], v[32:33]
	;; [unrolled: 1-line block ×4, first 2 shown]
	v_fma_f64 v[30:31], v[100:101], v[30:31], -v[36:37]
	v_fma_f64 v[34:35], v[104:105], v[34:35], -v[38:39]
	v_fma_f64 v[28:29], v[100:101], v[28:29], v[40:41]
	v_fma_f64 v[32:33], v[104:105], v[32:33], v[42:43]
	v_add_f64 v[42:43], v[26:27], v[30:31]
	v_add_f64 v[36:37], v[30:31], v[34:35]
	v_add_f64 v[44:45], v[30:31], -v[34:35]
	v_add_f64 v[38:39], v[28:29], v[32:33]
	v_add_f64 v[40:41], v[28:29], -v[32:33]
	v_add_f64 v[28:29], v[24:25], v[28:29]
	v_fma_f64 v[36:37], v[36:37], -0.5, v[26:27]
	v_add_f64 v[26:27], v[42:43], v[34:35]
	v_fma_f64 v[38:39], v[38:39], -0.5, v[24:25]
	v_add_f64 v[24:25], v[28:29], v[32:33]
	v_fma_f64 v[34:35], v[40:41], s[6:7], v[36:37]
	v_fma_f64 v[30:31], v[40:41], s[4:5], v[36:37]
	;; [unrolled: 1-line block ×4, first 2 shown]
	ds_write_b128 v190, v[24:27] offset:5184
	ds_write_b128 v190, v[32:35] offset:10944
	;; [unrolled: 1-line block ×3, first 2 shown]
.LBB0_29:
	s_or_b32 exec_lo, exec_lo, s1
	s_waitcnt lgkmcnt(0)
	s_barrier
	buffer_gl0_inv
	ds_read_b128 v[24:27], v190
	ds_read_b128 v[28:31], v190 offset:2880
	ds_read_b128 v[32:35], v190 offset:5760
	;; [unrolled: 1-line block ×5, first 2 shown]
	v_mad_u64_u32 v[48:49], null, s10, v184, 0
	v_mad_u64_u32 v[50:51], null, s8, v189, 0
	s_mul_i32 s1, s9, 0xb4
	s_mul_hi_u32 s7, s8, 0xb4
	s_mov_b32 s4, 0xc901e574
	s_mov_b32 s5, 0x3f4e573a
	s_mul_i32 s6, s8, 0xb4
	s_add_i32 s7, s7, s1
	v_mad_u64_u32 v[56:57], null, s11, v184, v[49:50]
	s_waitcnt lgkmcnt(5)
	v_mul_f64 v[52:53], v[2:3], v[26:27]
	v_mul_f64 v[2:3], v[2:3], v[24:25]
	s_waitcnt lgkmcnt(4)
	v_mul_f64 v[54:55], v[6:7], v[30:31]
	v_mul_f64 v[6:7], v[6:7], v[28:29]
	;; [unrolled: 3-line block ×5, first 2 shown]
	v_mov_b32_e32 v49, v56
	v_lshlrev_b64 v[48:49], 4, v[48:49]
	v_mad_u64_u32 v[57:58], null, s9, v189, v[51:52]
	v_mul_f64 v[58:59], v[10:11], v[34:35]
	v_mul_f64 v[10:11], v[10:11], v[32:33]
	v_fma_f64 v[24:25], v[0:1], v[24:25], v[52:53]
	v_fma_f64 v[2:3], v[0:1], v[26:27], -v[2:3]
	v_fma_f64 v[26:27], v[4:5], v[28:29], v[54:55]
	v_fma_f64 v[6:7], v[4:5], v[30:31], -v[6:7]
	v_mov_b32_e32 v51, v57
	v_fma_f64 v[30:31], v[12:13], v[36:37], v[60:61]
	v_fma_f64 v[14:15], v[12:13], v[38:39], -v[14:15]
	v_fma_f64 v[18:19], v[16:17], v[42:43], -v[18:19]
	;; [unrolled: 1-line block ×3, first 2 shown]
	v_lshlrev_b64 v[0:1], 4, v[50:51]
	v_add_co_u32 v4, s0, s2, v48
	v_add_co_ci_u32_e64 v5, s0, s3, v49, s0
	s_lshl_b64 s[2:3], s[6:7], 4
	v_add_co_u32 v36, s0, v4, v0
	v_add_co_ci_u32_e64 v37, s0, v5, v1, s0
	v_fma_f64 v[28:29], v[8:9], v[32:33], v[58:59]
	v_fma_f64 v[10:11], v[8:9], v[34:35], -v[10:11]
	v_fma_f64 v[32:33], v[16:17], v[40:41], v[62:63]
	v_fma_f64 v[34:35], v[20:21], v[44:45], v[64:65]
	v_mul_f64 v[0:1], v[24:25], s[4:5]
	v_mul_f64 v[2:3], v[2:3], s[4:5]
	v_add_co_u32 v24, s0, v36, s2
	v_add_co_ci_u32_e64 v25, s0, s3, v37, s0
	v_mul_f64 v[4:5], v[26:27], s[4:5]
	v_mul_f64 v[6:7], v[6:7], s[4:5]
	v_add_co_u32 v26, s0, v24, s2
	v_mul_f64 v[12:13], v[30:31], s[4:5]
	v_mul_f64 v[14:15], v[14:15], s[4:5]
	v_add_co_ci_u32_e64 v27, s0, s3, v25, s0
	v_mul_f64 v[18:19], v[18:19], s[4:5]
	v_mul_f64 v[22:23], v[22:23], s[4:5]
	;; [unrolled: 1-line block ×6, first 2 shown]
	v_add_co_u32 v28, s0, v26, s2
	v_add_co_ci_u32_e64 v29, s0, s3, v27, s0
	global_store_dwordx4 v[36:37], v[0:3], off
	v_add_co_u32 v30, s0, v28, s2
	v_add_co_ci_u32_e64 v31, s0, s3, v29, s0
	v_add_co_u32 v0, s0, v30, s2
	v_add_co_ci_u32_e64 v1, s0, s3, v31, s0
	global_store_dwordx4 v[24:25], v[4:7], off
	global_store_dwordx4 v[26:27], v[8:11], off
	;; [unrolled: 1-line block ×5, first 2 shown]
	s_and_b32 exec_lo, exec_lo, vcc_lo
	s_cbranch_execz .LBB0_31
; %bb.30:
	v_add_co_u32 v18, vcc_lo, 0x1800, v180
	v_add_co_ci_u32_e32 v19, vcc_lo, 0, v181, vcc_lo
	v_add_co_u32 v22, vcc_lo, 0x3000, v180
	v_add_co_ci_u32_e32 v23, vcc_lo, 0, v181, vcc_lo
	s_clause 0x5
	global_load_dwordx4 v[2:5], v[180:181], off offset:1728
	global_load_dwordx4 v[6:9], v[185:186], off offset:512
	;; [unrolled: 1-line block ×6, first 2 shown]
	ds_read_b128 v[26:29], v190 offset:1728
	ds_read_b128 v[30:33], v190 offset:4608
	;; [unrolled: 1-line block ×6, first 2 shown]
	v_mad_u64_u32 v[62:63], null, 0xffffce80, s8, v[0:1]
	s_mul_i32 s0, s9, 0xffffce80
	s_sub_i32 s0, s0, s8
	v_add_nc_u32_e32 v63, s0, v63
	s_waitcnt vmcnt(5) lgkmcnt(5)
	v_mul_f64 v[50:51], v[28:29], v[4:5]
	v_mul_f64 v[4:5], v[26:27], v[4:5]
	s_waitcnt vmcnt(4) lgkmcnt(4)
	v_mul_f64 v[52:53], v[32:33], v[8:9]
	v_mul_f64 v[8:9], v[30:31], v[8:9]
	s_waitcnt vmcnt(3) lgkmcnt(3)
	v_mul_f64 v[54:55], v[36:37], v[12:13]
	v_mul_f64 v[12:13], v[34:35], v[12:13]
	s_waitcnt vmcnt(2) lgkmcnt(2)
	v_mul_f64 v[56:57], v[40:41], v[16:17]
	v_mul_f64 v[16:17], v[38:39], v[16:17]
	s_waitcnt vmcnt(1) lgkmcnt(1)
	v_mul_f64 v[58:59], v[44:45], v[20:21]
	v_mul_f64 v[20:21], v[42:43], v[20:21]
	s_waitcnt vmcnt(0) lgkmcnt(0)
	v_mul_f64 v[60:61], v[48:49], v[24:25]
	v_mul_f64 v[24:25], v[46:47], v[24:25]
	v_fma_f64 v[0:1], v[26:27], v[2:3], v[50:51]
	v_fma_f64 v[2:3], v[2:3], v[28:29], -v[4:5]
	v_fma_f64 v[4:5], v[30:31], v[6:7], v[52:53]
	v_fma_f64 v[6:7], v[6:7], v[32:33], -v[8:9]
	;; [unrolled: 2-line block ×6, first 2 shown]
	v_add_co_u32 v24, vcc_lo, v62, s2
	v_add_co_ci_u32_e32 v25, vcc_lo, s3, v63, vcc_lo
	v_add_co_u32 v26, vcc_lo, v24, s2
	v_add_co_ci_u32_e32 v27, vcc_lo, s3, v25, vcc_lo
	v_mul_f64 v[0:1], v[0:1], s[4:5]
	v_mul_f64 v[2:3], v[2:3], s[4:5]
	v_mul_f64 v[4:5], v[4:5], s[4:5]
	v_mul_f64 v[6:7], v[6:7], s[4:5]
	v_mul_f64 v[8:9], v[8:9], s[4:5]
	v_mul_f64 v[10:11], v[10:11], s[4:5]
	v_mul_f64 v[12:13], v[12:13], s[4:5]
	v_mul_f64 v[14:15], v[14:15], s[4:5]
	v_mul_f64 v[16:17], v[16:17], s[4:5]
	v_mul_f64 v[18:19], v[18:19], s[4:5]
	v_mul_f64 v[20:21], v[20:21], s[4:5]
	v_mul_f64 v[22:23], v[22:23], s[4:5]
	v_add_co_u32 v28, vcc_lo, v26, s2
	v_add_co_ci_u32_e32 v29, vcc_lo, s3, v27, vcc_lo
	v_add_co_u32 v30, vcc_lo, v28, s2
	v_add_co_ci_u32_e32 v31, vcc_lo, s3, v29, vcc_lo
	;; [unrolled: 2-line block ×3, first 2 shown]
	global_store_dwordx4 v[62:63], v[0:3], off
	global_store_dwordx4 v[24:25], v[4:7], off
	;; [unrolled: 1-line block ×6, first 2 shown]
.LBB0_31:
	s_endpgm
	.section	.rodata,"a",@progbits
	.p2align	6, 0x0
	.amdhsa_kernel bluestein_single_back_len1080_dim1_dp_op_CI_CI
		.amdhsa_group_segment_fixed_size 34560
		.amdhsa_private_segment_fixed_size 0
		.amdhsa_kernarg_size 104
		.amdhsa_user_sgpr_count 6
		.amdhsa_user_sgpr_private_segment_buffer 1
		.amdhsa_user_sgpr_dispatch_ptr 0
		.amdhsa_user_sgpr_queue_ptr 0
		.amdhsa_user_sgpr_kernarg_segment_ptr 1
		.amdhsa_user_sgpr_dispatch_id 0
		.amdhsa_user_sgpr_flat_scratch_init 0
		.amdhsa_user_sgpr_private_segment_size 0
		.amdhsa_wavefront_size32 1
		.amdhsa_uses_dynamic_stack 0
		.amdhsa_system_sgpr_private_segment_wavefront_offset 0
		.amdhsa_system_sgpr_workgroup_id_x 1
		.amdhsa_system_sgpr_workgroup_id_y 0
		.amdhsa_system_sgpr_workgroup_id_z 0
		.amdhsa_system_sgpr_workgroup_info 0
		.amdhsa_system_vgpr_workitem_id 0
		.amdhsa_next_free_vgpr 243
		.amdhsa_next_free_sgpr 24
		.amdhsa_reserve_vcc 1
		.amdhsa_reserve_flat_scratch 0
		.amdhsa_float_round_mode_32 0
		.amdhsa_float_round_mode_16_64 0
		.amdhsa_float_denorm_mode_32 3
		.amdhsa_float_denorm_mode_16_64 3
		.amdhsa_dx10_clamp 1
		.amdhsa_ieee_mode 1
		.amdhsa_fp16_overflow 0
		.amdhsa_workgroup_processor_mode 1
		.amdhsa_memory_ordered 1
		.amdhsa_forward_progress 0
		.amdhsa_shared_vgpr_count 0
		.amdhsa_exception_fp_ieee_invalid_op 0
		.amdhsa_exception_fp_denorm_src 0
		.amdhsa_exception_fp_ieee_div_zero 0
		.amdhsa_exception_fp_ieee_overflow 0
		.amdhsa_exception_fp_ieee_underflow 0
		.amdhsa_exception_fp_ieee_inexact 0
		.amdhsa_exception_int_div_zero 0
	.end_amdhsa_kernel
	.text
.Lfunc_end0:
	.size	bluestein_single_back_len1080_dim1_dp_op_CI_CI, .Lfunc_end0-bluestein_single_back_len1080_dim1_dp_op_CI_CI
                                        ; -- End function
	.section	.AMDGPU.csdata,"",@progbits
; Kernel info:
; codeLenInByte = 14844
; NumSgprs: 26
; NumVgprs: 243
; ScratchSize: 0
; MemoryBound: 0
; FloatMode: 240
; IeeeMode: 1
; LDSByteSize: 34560 bytes/workgroup (compile time only)
; SGPRBlocks: 3
; VGPRBlocks: 30
; NumSGPRsForWavesPerEU: 26
; NumVGPRsForWavesPerEU: 243
; Occupancy: 4
; WaveLimiterHint : 1
; COMPUTE_PGM_RSRC2:SCRATCH_EN: 0
; COMPUTE_PGM_RSRC2:USER_SGPR: 6
; COMPUTE_PGM_RSRC2:TRAP_HANDLER: 0
; COMPUTE_PGM_RSRC2:TGID_X_EN: 1
; COMPUTE_PGM_RSRC2:TGID_Y_EN: 0
; COMPUTE_PGM_RSRC2:TGID_Z_EN: 0
; COMPUTE_PGM_RSRC2:TIDIG_COMP_CNT: 0
	.text
	.p2alignl 6, 3214868480
	.fill 48, 4, 3214868480
	.type	__hip_cuid_930e743d1208ca33,@object ; @__hip_cuid_930e743d1208ca33
	.section	.bss,"aw",@nobits
	.globl	__hip_cuid_930e743d1208ca33
__hip_cuid_930e743d1208ca33:
	.byte	0                               ; 0x0
	.size	__hip_cuid_930e743d1208ca33, 1

	.ident	"AMD clang version 19.0.0git (https://github.com/RadeonOpenCompute/llvm-project roc-6.4.0 25133 c7fe45cf4b819c5991fe208aaa96edf142730f1d)"
	.section	".note.GNU-stack","",@progbits
	.addrsig
	.addrsig_sym __hip_cuid_930e743d1208ca33
	.amdgpu_metadata
---
amdhsa.kernels:
  - .args:
      - .actual_access:  read_only
        .address_space:  global
        .offset:         0
        .size:           8
        .value_kind:     global_buffer
      - .actual_access:  read_only
        .address_space:  global
        .offset:         8
        .size:           8
        .value_kind:     global_buffer
      - .actual_access:  read_only
        .address_space:  global
        .offset:         16
        .size:           8
        .value_kind:     global_buffer
      - .actual_access:  read_only
        .address_space:  global
        .offset:         24
        .size:           8
        .value_kind:     global_buffer
      - .actual_access:  read_only
        .address_space:  global
        .offset:         32
        .size:           8
        .value_kind:     global_buffer
      - .offset:         40
        .size:           8
        .value_kind:     by_value
      - .address_space:  global
        .offset:         48
        .size:           8
        .value_kind:     global_buffer
      - .address_space:  global
        .offset:         56
        .size:           8
        .value_kind:     global_buffer
      - .address_space:  global
        .offset:         64
        .size:           8
        .value_kind:     global_buffer
      - .address_space:  global
        .offset:         72
        .size:           8
        .value_kind:     global_buffer
      - .offset:         80
        .size:           4
        .value_kind:     by_value
      - .address_space:  global
        .offset:         88
        .size:           8
        .value_kind:     global_buffer
      - .address_space:  global
        .offset:         96
        .size:           8
        .value_kind:     global_buffer
    .group_segment_fixed_size: 34560
    .kernarg_segment_align: 8
    .kernarg_segment_size: 104
    .language:       OpenCL C
    .language_version:
      - 2
      - 0
    .max_flat_workgroup_size: 216
    .name:           bluestein_single_back_len1080_dim1_dp_op_CI_CI
    .private_segment_fixed_size: 0
    .sgpr_count:     26
    .sgpr_spill_count: 0
    .symbol:         bluestein_single_back_len1080_dim1_dp_op_CI_CI.kd
    .uniform_work_group_size: 1
    .uses_dynamic_stack: false
    .vgpr_count:     243
    .vgpr_spill_count: 0
    .wavefront_size: 32
    .workgroup_processor_mode: 1
amdhsa.target:   amdgcn-amd-amdhsa--gfx1030
amdhsa.version:
  - 1
  - 2
...

	.end_amdgpu_metadata
